;; amdgpu-corpus repo=LLNL/RAJAPerf kind=compiled arch=gfx1250 opt=O3
	.amdgcn_target "amdgcn-amd-amdhsa--gfx1250"
	.amdhsa_code_object_version 6
	.section	.text._ZN8rajaperf9polybench10poly_2mm_1ILm32ELm8EEEvPdS2_S2_dlll,"axG",@progbits,_ZN8rajaperf9polybench10poly_2mm_1ILm32ELm8EEEvPdS2_S2_dlll,comdat
	.protected	_ZN8rajaperf9polybench10poly_2mm_1ILm32ELm8EEEvPdS2_S2_dlll ; -- Begin function _ZN8rajaperf9polybench10poly_2mm_1ILm32ELm8EEEvPdS2_S2_dlll
	.globl	_ZN8rajaperf9polybench10poly_2mm_1ILm32ELm8EEEvPdS2_S2_dlll
	.p2align	8
	.type	_ZN8rajaperf9polybench10poly_2mm_1ILm32ELm8EEEvPdS2_S2_dlll,@function
_ZN8rajaperf9polybench10poly_2mm_1ILm32ELm8EEEvPdS2_S2_dlll: ; @_ZN8rajaperf9polybench10poly_2mm_1ILm32ELm8EEEvPdS2_S2_dlll
; %bb.0:
	s_bfe_u32 s3, ttmp6, 0x4000c
	s_bfe_u32 s4, ttmp6, 0x40010
	s_add_co_i32 s3, s3, 1
	s_add_co_i32 s4, s4, 1
	s_load_b128 s[12:15], s[0:1], 0x20
	s_and_b32 s2, ttmp6, 15
	s_mul_i32 s3, ttmp9, s3
	s_mul_i32 s4, ttmp7, s4
	s_bfe_u32 s5, ttmp6, 0x40004
	s_add_co_i32 s6, s2, s3
	s_getreg_b32 s2, hwreg(HW_REG_IB_STS2, 6, 4)
	s_add_co_i32 s5, s5, s4
	v_bfe_u32 v4, v0, 10, 10
	v_mov_b32_e32 v5, 0
	s_cmp_eq_u32 s2, 0
	s_mov_b32 s3, 0
	s_cselect_b32 s2, ttmp7, s5
	s_delay_alu instid0(VALU_DEP_1) | instid1(SALU_CYCLE_1)
	v_lshl_add_u64 v[2:3], s[2:3], 3, v[4:5]
	v_and_b32_e32 v4, 0x3ff, v0
	s_cselect_b32 s2, ttmp9, s6
	s_delay_alu instid0(SALU_CYCLE_1)
	s_lshl_b64 s[2:3], s[2:3], 5
	s_delay_alu instid0(VALU_DEP_1) | instid1(SALU_CYCLE_1)
	v_add_nc_u64_e32 v[0:1], s[2:3], v[4:5]
	s_wait_kmcnt 0x0
	v_cmp_gt_i64_e32 vcc_lo, s[12:13], v[2:3]
	s_delay_alu instid0(VALU_DEP_2) | instskip(SKIP_1) | instid1(SALU_CYCLE_1)
	v_cmp_gt_i64_e64 s2, s[14:15], v[0:1]
	s_and_b32 s2, vcc_lo, s2
	s_and_saveexec_b32 s3, s2
	s_cbranch_execz .LBB0_6
; %bb.1:
	s_clause 0x1
	s_load_b128 s[16:19], s[0:1], 0x30
	s_load_b256 s[4:11], s[0:1], 0x0
	s_wait_kmcnt 0x0
	v_cmp_lt_i64_e64 s0, s[16:17], 1
	s_and_b32 vcc_lo, exec_lo, s0
	s_cbranch_vccnz .LBB0_4
; %bb.2:
	v_mul_u64_e32 v[6:7], s[16:17], v[2:3]
	v_mov_b64_e32 v[4:5], 0
	v_lshl_add_u64 v[8:9], v[0:1], 3, s[8:9]
	s_lshl_b64 s[0:1], s[14:15], 3
	s_delay_alu instid0(VALU_DEP_3)
	v_lshl_add_u64 v[6:7], v[6:7], 3, s[6:7]
.LBB0_3:                                ; =>This Inner Loop Header: Depth=1
	global_load_b64 v[10:11], v[6:7], off
	global_load_b64 v[12:13], v[8:9], off
	s_wait_xcnt 0x1
	v_add_nc_u64_e32 v[6:7], 8, v[6:7]
	s_wait_xcnt 0x0
	v_add_nc_u64_e32 v[8:9], s[0:1], v[8:9]
	s_add_nc_u64 s[16:17], s[16:17], -1
	s_delay_alu instid0(SALU_CYCLE_1) | instskip(SKIP_3) | instid1(VALU_DEP_1)
	s_cmp_eq_u64 s[16:17], 0
	s_wait_loadcnt 0x1
	v_mul_f64_e32 v[10:11], s[10:11], v[10:11]
	s_wait_loadcnt 0x0
	v_fmac_f64_e32 v[4:5], v[10:11], v[12:13]
	s_cbranch_scc0 .LBB0_3
	s_branch .LBB0_5
.LBB0_4:
	v_mov_b64_e32 v[4:5], 0
.LBB0_5:
	v_mul_u64_e32 v[2:3], s[14:15], v[2:3]
	v_lshl_add_u64 v[0:1], v[0:1], 3, s[4:5]
	s_delay_alu instid0(VALU_DEP_1)
	v_lshl_add_u64 v[0:1], v[2:3], 3, v[0:1]
	global_store_b64 v[0:1], v[4:5], off
.LBB0_6:
	s_endpgm
	.section	.rodata,"a",@progbits
	.p2align	6, 0x0
	.amdhsa_kernel _ZN8rajaperf9polybench10poly_2mm_1ILm32ELm8EEEvPdS2_S2_dlll
		.amdhsa_group_segment_fixed_size 0
		.amdhsa_private_segment_fixed_size 0
		.amdhsa_kernarg_size 56
		.amdhsa_user_sgpr_count 2
		.amdhsa_user_sgpr_dispatch_ptr 0
		.amdhsa_user_sgpr_queue_ptr 0
		.amdhsa_user_sgpr_kernarg_segment_ptr 1
		.amdhsa_user_sgpr_dispatch_id 0
		.amdhsa_user_sgpr_kernarg_preload_length 0
		.amdhsa_user_sgpr_kernarg_preload_offset 0
		.amdhsa_user_sgpr_private_segment_size 0
		.amdhsa_wavefront_size32 1
		.amdhsa_uses_dynamic_stack 0
		.amdhsa_enable_private_segment 0
		.amdhsa_system_sgpr_workgroup_id_x 1
		.amdhsa_system_sgpr_workgroup_id_y 1
		.amdhsa_system_sgpr_workgroup_id_z 0
		.amdhsa_system_sgpr_workgroup_info 0
		.amdhsa_system_vgpr_workitem_id 1
		.amdhsa_next_free_vgpr 14
		.amdhsa_next_free_sgpr 20
		.amdhsa_named_barrier_count 0
		.amdhsa_reserve_vcc 1
		.amdhsa_float_round_mode_32 0
		.amdhsa_float_round_mode_16_64 0
		.amdhsa_float_denorm_mode_32 3
		.amdhsa_float_denorm_mode_16_64 3
		.amdhsa_fp16_overflow 0
		.amdhsa_memory_ordered 1
		.amdhsa_forward_progress 1
		.amdhsa_inst_pref_size 3
		.amdhsa_round_robin_scheduling 0
		.amdhsa_exception_fp_ieee_invalid_op 0
		.amdhsa_exception_fp_denorm_src 0
		.amdhsa_exception_fp_ieee_div_zero 0
		.amdhsa_exception_fp_ieee_overflow 0
		.amdhsa_exception_fp_ieee_underflow 0
		.amdhsa_exception_fp_ieee_inexact 0
		.amdhsa_exception_int_div_zero 0
	.end_amdhsa_kernel
	.section	.text._ZN8rajaperf9polybench10poly_2mm_1ILm32ELm8EEEvPdS2_S2_dlll,"axG",@progbits,_ZN8rajaperf9polybench10poly_2mm_1ILm32ELm8EEEvPdS2_S2_dlll,comdat
.Lfunc_end0:
	.size	_ZN8rajaperf9polybench10poly_2mm_1ILm32ELm8EEEvPdS2_S2_dlll, .Lfunc_end0-_ZN8rajaperf9polybench10poly_2mm_1ILm32ELm8EEEvPdS2_S2_dlll
                                        ; -- End function
	.set _ZN8rajaperf9polybench10poly_2mm_1ILm32ELm8EEEvPdS2_S2_dlll.num_vgpr, 14
	.set _ZN8rajaperf9polybench10poly_2mm_1ILm32ELm8EEEvPdS2_S2_dlll.num_agpr, 0
	.set _ZN8rajaperf9polybench10poly_2mm_1ILm32ELm8EEEvPdS2_S2_dlll.numbered_sgpr, 20
	.set _ZN8rajaperf9polybench10poly_2mm_1ILm32ELm8EEEvPdS2_S2_dlll.num_named_barrier, 0
	.set _ZN8rajaperf9polybench10poly_2mm_1ILm32ELm8EEEvPdS2_S2_dlll.private_seg_size, 0
	.set _ZN8rajaperf9polybench10poly_2mm_1ILm32ELm8EEEvPdS2_S2_dlll.uses_vcc, 1
	.set _ZN8rajaperf9polybench10poly_2mm_1ILm32ELm8EEEvPdS2_S2_dlll.uses_flat_scratch, 0
	.set _ZN8rajaperf9polybench10poly_2mm_1ILm32ELm8EEEvPdS2_S2_dlll.has_dyn_sized_stack, 0
	.set _ZN8rajaperf9polybench10poly_2mm_1ILm32ELm8EEEvPdS2_S2_dlll.has_recursion, 0
	.set _ZN8rajaperf9polybench10poly_2mm_1ILm32ELm8EEEvPdS2_S2_dlll.has_indirect_call, 0
	.section	.AMDGPU.csdata,"",@progbits
; Kernel info:
; codeLenInByte = 352
; TotalNumSgprs: 22
; NumVgprs: 14
; ScratchSize: 0
; MemoryBound: 0
; FloatMode: 240
; IeeeMode: 1
; LDSByteSize: 0 bytes/workgroup (compile time only)
; SGPRBlocks: 0
; VGPRBlocks: 0
; NumSGPRsForWavesPerEU: 22
; NumVGPRsForWavesPerEU: 14
; NamedBarCnt: 0
; Occupancy: 16
; WaveLimiterHint : 0
; COMPUTE_PGM_RSRC2:SCRATCH_EN: 0
; COMPUTE_PGM_RSRC2:USER_SGPR: 2
; COMPUTE_PGM_RSRC2:TRAP_HANDLER: 0
; COMPUTE_PGM_RSRC2:TGID_X_EN: 1
; COMPUTE_PGM_RSRC2:TGID_Y_EN: 1
; COMPUTE_PGM_RSRC2:TGID_Z_EN: 0
; COMPUTE_PGM_RSRC2:TIDIG_COMP_CNT: 1
	.section	.text._ZN8rajaperf9polybench10poly_2mm_2ILm32ELm8EEEvPdS2_S2_dlll,"axG",@progbits,_ZN8rajaperf9polybench10poly_2mm_2ILm32ELm8EEEvPdS2_S2_dlll,comdat
	.protected	_ZN8rajaperf9polybench10poly_2mm_2ILm32ELm8EEEvPdS2_S2_dlll ; -- Begin function _ZN8rajaperf9polybench10poly_2mm_2ILm32ELm8EEEvPdS2_S2_dlll
	.globl	_ZN8rajaperf9polybench10poly_2mm_2ILm32ELm8EEEvPdS2_S2_dlll
	.p2align	8
	.type	_ZN8rajaperf9polybench10poly_2mm_2ILm32ELm8EEEvPdS2_S2_dlll,@function
_ZN8rajaperf9polybench10poly_2mm_2ILm32ELm8EEEvPdS2_S2_dlll: ; @_ZN8rajaperf9polybench10poly_2mm_2ILm32ELm8EEEvPdS2_S2_dlll
; %bb.0:
	s_bfe_u32 s3, ttmp6, 0x4000c
	s_bfe_u32 s4, ttmp6, 0x40010
	s_add_co_i32 s3, s3, 1
	s_add_co_i32 s4, s4, 1
	s_load_b128 s[12:15], s[0:1], 0x20
	s_and_b32 s2, ttmp6, 15
	s_mul_i32 s3, ttmp9, s3
	s_mul_i32 s4, ttmp7, s4
	s_bfe_u32 s5, ttmp6, 0x40004
	s_add_co_i32 s6, s2, s3
	s_getreg_b32 s2, hwreg(HW_REG_IB_STS2, 6, 4)
	s_add_co_i32 s5, s5, s4
	v_bfe_u32 v4, v0, 10, 10
	v_mov_b32_e32 v5, 0
	s_cmp_eq_u32 s2, 0
	s_mov_b32 s3, 0
	s_cselect_b32 s2, ttmp7, s5
	s_delay_alu instid0(VALU_DEP_1) | instid1(SALU_CYCLE_1)
	v_lshl_add_u64 v[2:3], s[2:3], 3, v[4:5]
	v_and_b32_e32 v4, 0x3ff, v0
	s_cselect_b32 s2, ttmp9, s6
	s_delay_alu instid0(SALU_CYCLE_1)
	s_lshl_b64 s[2:3], s[2:3], 5
	s_delay_alu instid0(VALU_DEP_1) | instid1(SALU_CYCLE_1)
	v_add_nc_u64_e32 v[0:1], s[2:3], v[4:5]
	s_wait_kmcnt 0x0
	v_cmp_gt_i64_e32 vcc_lo, s[12:13], v[2:3]
	s_delay_alu instid0(VALU_DEP_2) | instskip(SKIP_1) | instid1(SALU_CYCLE_1)
	v_cmp_gt_i64_e64 s2, s[14:15], v[0:1]
	s_and_b32 s2, vcc_lo, s2
	s_and_saveexec_b32 s3, s2
	s_cbranch_execz .LBB1_5
; %bb.1:
	s_clause 0x1
	s_load_b128 s[16:19], s[0:1], 0x30
	s_load_b256 s[4:11], s[0:1], 0x0
	s_wait_kmcnt 0x0
	v_cmp_lt_i64_e64 s0, s[16:17], 1
	v_mov_b64_e32 v[4:5], s[10:11]
	s_and_b32 vcc_lo, exec_lo, s0
	s_cbranch_vccnz .LBB1_4
; %bb.2:
	v_mul_u64_e32 v[4:5], s[16:17], v[2:3]
	v_lshl_add_u64 v[6:7], v[0:1], 3, s[6:7]
	s_lshl_b64 s[0:1], s[14:15], 3
	s_delay_alu instid0(VALU_DEP_2)
	v_lshl_add_u64 v[8:9], v[4:5], 3, s[4:5]
	v_mov_b64_e32 v[4:5], s[10:11]
.LBB1_3:                                ; =>This Inner Loop Header: Depth=1
	global_load_b64 v[10:11], v[8:9], off
	global_load_b64 v[12:13], v[6:7], off
	s_wait_xcnt 0x1
	v_add_nc_u64_e32 v[8:9], 8, v[8:9]
	s_wait_xcnt 0x0
	v_add_nc_u64_e32 v[6:7], s[0:1], v[6:7]
	s_add_nc_u64 s[16:17], s[16:17], -1
	s_delay_alu instid0(SALU_CYCLE_1)
	s_cmp_eq_u64 s[16:17], 0
	s_wait_loadcnt 0x0
	v_fmac_f64_e32 v[4:5], v[10:11], v[12:13]
	s_cbranch_scc0 .LBB1_3
.LBB1_4:
	v_mul_u64_e32 v[2:3], s[14:15], v[2:3]
	v_lshl_add_u64 v[0:1], v[0:1], 3, s[8:9]
	s_delay_alu instid0(VALU_DEP_1)
	v_lshl_add_u64 v[0:1], v[2:3], 3, v[0:1]
	global_store_b64 v[0:1], v[4:5], off
.LBB1_5:
	s_endpgm
	.section	.rodata,"a",@progbits
	.p2align	6, 0x0
	.amdhsa_kernel _ZN8rajaperf9polybench10poly_2mm_2ILm32ELm8EEEvPdS2_S2_dlll
		.amdhsa_group_segment_fixed_size 0
		.amdhsa_private_segment_fixed_size 0
		.amdhsa_kernarg_size 56
		.amdhsa_user_sgpr_count 2
		.amdhsa_user_sgpr_dispatch_ptr 0
		.amdhsa_user_sgpr_queue_ptr 0
		.amdhsa_user_sgpr_kernarg_segment_ptr 1
		.amdhsa_user_sgpr_dispatch_id 0
		.amdhsa_user_sgpr_kernarg_preload_length 0
		.amdhsa_user_sgpr_kernarg_preload_offset 0
		.amdhsa_user_sgpr_private_segment_size 0
		.amdhsa_wavefront_size32 1
		.amdhsa_uses_dynamic_stack 0
		.amdhsa_enable_private_segment 0
		.amdhsa_system_sgpr_workgroup_id_x 1
		.amdhsa_system_sgpr_workgroup_id_y 1
		.amdhsa_system_sgpr_workgroup_id_z 0
		.amdhsa_system_sgpr_workgroup_info 0
		.amdhsa_system_vgpr_workitem_id 1
		.amdhsa_next_free_vgpr 14
		.amdhsa_next_free_sgpr 20
		.amdhsa_named_barrier_count 0
		.amdhsa_reserve_vcc 1
		.amdhsa_float_round_mode_32 0
		.amdhsa_float_round_mode_16_64 0
		.amdhsa_float_denorm_mode_32 3
		.amdhsa_float_denorm_mode_16_64 3
		.amdhsa_fp16_overflow 0
		.amdhsa_memory_ordered 1
		.amdhsa_forward_progress 1
		.amdhsa_inst_pref_size 3
		.amdhsa_round_robin_scheduling 0
		.amdhsa_exception_fp_ieee_invalid_op 0
		.amdhsa_exception_fp_denorm_src 0
		.amdhsa_exception_fp_ieee_div_zero 0
		.amdhsa_exception_fp_ieee_overflow 0
		.amdhsa_exception_fp_ieee_underflow 0
		.amdhsa_exception_fp_ieee_inexact 0
		.amdhsa_exception_int_div_zero 0
	.end_amdhsa_kernel
	.section	.text._ZN8rajaperf9polybench10poly_2mm_2ILm32ELm8EEEvPdS2_S2_dlll,"axG",@progbits,_ZN8rajaperf9polybench10poly_2mm_2ILm32ELm8EEEvPdS2_S2_dlll,comdat
.Lfunc_end1:
	.size	_ZN8rajaperf9polybench10poly_2mm_2ILm32ELm8EEEvPdS2_S2_dlll, .Lfunc_end1-_ZN8rajaperf9polybench10poly_2mm_2ILm32ELm8EEEvPdS2_S2_dlll
                                        ; -- End function
	.set _ZN8rajaperf9polybench10poly_2mm_2ILm32ELm8EEEvPdS2_S2_dlll.num_vgpr, 14
	.set _ZN8rajaperf9polybench10poly_2mm_2ILm32ELm8EEEvPdS2_S2_dlll.num_agpr, 0
	.set _ZN8rajaperf9polybench10poly_2mm_2ILm32ELm8EEEvPdS2_S2_dlll.numbered_sgpr, 20
	.set _ZN8rajaperf9polybench10poly_2mm_2ILm32ELm8EEEvPdS2_S2_dlll.num_named_barrier, 0
	.set _ZN8rajaperf9polybench10poly_2mm_2ILm32ELm8EEEvPdS2_S2_dlll.private_seg_size, 0
	.set _ZN8rajaperf9polybench10poly_2mm_2ILm32ELm8EEEvPdS2_S2_dlll.uses_vcc, 1
	.set _ZN8rajaperf9polybench10poly_2mm_2ILm32ELm8EEEvPdS2_S2_dlll.uses_flat_scratch, 0
	.set _ZN8rajaperf9polybench10poly_2mm_2ILm32ELm8EEEvPdS2_S2_dlll.has_dyn_sized_stack, 0
	.set _ZN8rajaperf9polybench10poly_2mm_2ILm32ELm8EEEvPdS2_S2_dlll.has_recursion, 0
	.set _ZN8rajaperf9polybench10poly_2mm_2ILm32ELm8EEEvPdS2_S2_dlll.has_indirect_call, 0
	.section	.AMDGPU.csdata,"",@progbits
; Kernel info:
; codeLenInByte = 340
; TotalNumSgprs: 22
; NumVgprs: 14
; ScratchSize: 0
; MemoryBound: 0
; FloatMode: 240
; IeeeMode: 1
; LDSByteSize: 0 bytes/workgroup (compile time only)
; SGPRBlocks: 0
; VGPRBlocks: 0
; NumSGPRsForWavesPerEU: 22
; NumVGPRsForWavesPerEU: 14
; NamedBarCnt: 0
; Occupancy: 16
; WaveLimiterHint : 0
; COMPUTE_PGM_RSRC2:SCRATCH_EN: 0
; COMPUTE_PGM_RSRC2:USER_SGPR: 2
; COMPUTE_PGM_RSRC2:TRAP_HANDLER: 0
; COMPUTE_PGM_RSRC2:TGID_X_EN: 1
; COMPUTE_PGM_RSRC2:TGID_Y_EN: 1
; COMPUTE_PGM_RSRC2:TGID_Z_EN: 0
; COMPUTE_PGM_RSRC2:TIDIG_COMP_CNT: 1
	.section	.text._ZN8rajaperf9polybench14poly_2mm_1_lamILm32ELm8EZNS0_13POLYBENCH_2MM17runHipVariantImplILm256EEEvNS_9VariantIDEEUlllE_EEvllT1_,"axG",@progbits,_ZN8rajaperf9polybench14poly_2mm_1_lamILm32ELm8EZNS0_13POLYBENCH_2MM17runHipVariantImplILm256EEEvNS_9VariantIDEEUlllE_EEvllT1_,comdat
	.protected	_ZN8rajaperf9polybench14poly_2mm_1_lamILm32ELm8EZNS0_13POLYBENCH_2MM17runHipVariantImplILm256EEEvNS_9VariantIDEEUlllE_EEvllT1_ ; -- Begin function _ZN8rajaperf9polybench14poly_2mm_1_lamILm32ELm8EZNS0_13POLYBENCH_2MM17runHipVariantImplILm256EEEvNS_9VariantIDEEUlllE_EEvllT1_
	.globl	_ZN8rajaperf9polybench14poly_2mm_1_lamILm32ELm8EZNS0_13POLYBENCH_2MM17runHipVariantImplILm256EEEvNS_9VariantIDEEUlllE_EEvllT1_
	.p2align	8
	.type	_ZN8rajaperf9polybench14poly_2mm_1_lamILm32ELm8EZNS0_13POLYBENCH_2MM17runHipVariantImplILm256EEEvNS_9VariantIDEEUlllE_EEvllT1_,@function
_ZN8rajaperf9polybench14poly_2mm_1_lamILm32ELm8EZNS0_13POLYBENCH_2MM17runHipVariantImplILm256EEEvNS_9VariantIDEEUlllE_EEvllT1_: ; @_ZN8rajaperf9polybench14poly_2mm_1_lamILm32ELm8EZNS0_13POLYBENCH_2MM17runHipVariantImplILm256EEEvNS_9VariantIDEEUlllE_EEvllT1_
; %bb.0:
	s_load_b512 s[4:19], s[0:1], 0x0
	s_wait_xcnt 0x0
	s_bfe_u32 s1, ttmp6, 0x4000c
	s_bfe_u32 s2, ttmp6, 0x40010
	s_add_co_i32 s1, s1, 1
	s_add_co_i32 s2, s2, 1
	s_and_b32 s0, ttmp6, 15
	s_mul_i32 s1, ttmp9, s1
	s_mul_i32 s2, ttmp7, s2
	s_bfe_u32 s3, ttmp6, 0x40004
	s_add_co_i32 s20, s0, s1
	s_getreg_b32 s0, hwreg(HW_REG_IB_STS2, 6, 4)
	s_add_co_i32 s3, s3, s2
	v_bfe_u32 v4, v0, 10, 10
	v_mov_b32_e32 v5, 0
	s_cmp_eq_u32 s0, 0
	s_mov_b32 s1, 0
	s_cselect_b32 s0, ttmp7, s3
	s_delay_alu instid0(VALU_DEP_1) | instid1(SALU_CYCLE_1)
	v_lshl_add_u64 v[2:3], s[0:1], 3, v[4:5]
	v_and_b32_e32 v4, 0x3ff, v0
	s_cselect_b32 s0, ttmp9, s20
	s_delay_alu instid0(SALU_CYCLE_1) | instskip(SKIP_3) | instid1(VALU_DEP_1)
	s_lshl_b64 s[0:1], s[0:1], 5
	s_wait_kmcnt 0x0
	v_cmp_gt_i64_e32 vcc_lo, s[4:5], v[2:3]
	v_add_nc_u64_e32 v[0:1], s[0:1], v[4:5]
	v_cmp_gt_i64_e64 s0, s[6:7], v[0:1]
	s_and_b32 s0, vcc_lo, s0
	s_delay_alu instid0(SALU_CYCLE_1)
	s_and_saveexec_b32 s1, s0
	s_cbranch_execz .LBB2_6
; %bb.1:
	v_cmp_lt_i64_e64 s0, s[8:9], 1
	s_and_b32 vcc_lo, exec_lo, s0
	s_cbranch_vccnz .LBB2_4
; %bb.2:
	v_mul_u64_e32 v[6:7], s[8:9], v[2:3]
	v_mov_b64_e32 v[4:5], 0
	v_lshl_add_u64 v[8:9], v[0:1], 3, s[14:15]
	s_lshl_b64 s[0:1], s[16:17], 3
	s_delay_alu instid0(VALU_DEP_3)
	v_lshl_add_u64 v[6:7], v[6:7], 3, s[12:13]
.LBB2_3:                                ; =>This Inner Loop Header: Depth=1
	global_load_b64 v[10:11], v[6:7], off
	global_load_b64 v[12:13], v[8:9], off
	s_wait_xcnt 0x1
	v_add_nc_u64_e32 v[6:7], 8, v[6:7]
	s_wait_xcnt 0x0
	v_add_nc_u64_e32 v[8:9], s[0:1], v[8:9]
	s_add_nc_u64 s[8:9], s[8:9], -1
	s_delay_alu instid0(SALU_CYCLE_1) | instskip(SKIP_3) | instid1(VALU_DEP_1)
	s_cmp_lg_u64 s[8:9], 0
	s_wait_loadcnt 0x1
	v_mul_f64_e32 v[10:11], s[10:11], v[10:11]
	s_wait_loadcnt 0x0
	v_fmac_f64_e32 v[4:5], v[10:11], v[12:13]
	s_cbranch_scc1 .LBB2_3
	s_branch .LBB2_5
.LBB2_4:
	v_mov_b64_e32 v[4:5], 0
.LBB2_5:
	v_mul_u64_e32 v[2:3], s[16:17], v[2:3]
	v_lshl_add_u64 v[0:1], v[0:1], 3, s[18:19]
	s_delay_alu instid0(VALU_DEP_1)
	v_lshl_add_u64 v[0:1], v[2:3], 3, v[0:1]
	global_store_b64 v[0:1], v[4:5], off
.LBB2_6:
	s_endpgm
	.section	.rodata,"a",@progbits
	.p2align	6, 0x0
	.amdhsa_kernel _ZN8rajaperf9polybench14poly_2mm_1_lamILm32ELm8EZNS0_13POLYBENCH_2MM17runHipVariantImplILm256EEEvNS_9VariantIDEEUlllE_EEvllT1_
		.amdhsa_group_segment_fixed_size 0
		.amdhsa_private_segment_fixed_size 0
		.amdhsa_kernarg_size 64
		.amdhsa_user_sgpr_count 2
		.amdhsa_user_sgpr_dispatch_ptr 0
		.amdhsa_user_sgpr_queue_ptr 0
		.amdhsa_user_sgpr_kernarg_segment_ptr 1
		.amdhsa_user_sgpr_dispatch_id 0
		.amdhsa_user_sgpr_kernarg_preload_length 0
		.amdhsa_user_sgpr_kernarg_preload_offset 0
		.amdhsa_user_sgpr_private_segment_size 0
		.amdhsa_wavefront_size32 1
		.amdhsa_uses_dynamic_stack 0
		.amdhsa_enable_private_segment 0
		.amdhsa_system_sgpr_workgroup_id_x 1
		.amdhsa_system_sgpr_workgroup_id_y 1
		.amdhsa_system_sgpr_workgroup_id_z 0
		.amdhsa_system_sgpr_workgroup_info 0
		.amdhsa_system_vgpr_workitem_id 1
		.amdhsa_next_free_vgpr 14
		.amdhsa_next_free_sgpr 21
		.amdhsa_named_barrier_count 0
		.amdhsa_reserve_vcc 1
		.amdhsa_float_round_mode_32 0
		.amdhsa_float_round_mode_16_64 0
		.amdhsa_float_denorm_mode_32 3
		.amdhsa_float_denorm_mode_16_64 3
		.amdhsa_fp16_overflow 0
		.amdhsa_memory_ordered 1
		.amdhsa_forward_progress 1
		.amdhsa_inst_pref_size 3
		.amdhsa_round_robin_scheduling 0
		.amdhsa_exception_fp_ieee_invalid_op 0
		.amdhsa_exception_fp_denorm_src 0
		.amdhsa_exception_fp_ieee_div_zero 0
		.amdhsa_exception_fp_ieee_overflow 0
		.amdhsa_exception_fp_ieee_underflow 0
		.amdhsa_exception_fp_ieee_inexact 0
		.amdhsa_exception_int_div_zero 0
	.end_amdhsa_kernel
	.section	.text._ZN8rajaperf9polybench14poly_2mm_1_lamILm32ELm8EZNS0_13POLYBENCH_2MM17runHipVariantImplILm256EEEvNS_9VariantIDEEUlllE_EEvllT1_,"axG",@progbits,_ZN8rajaperf9polybench14poly_2mm_1_lamILm32ELm8EZNS0_13POLYBENCH_2MM17runHipVariantImplILm256EEEvNS_9VariantIDEEUlllE_EEvllT1_,comdat
.Lfunc_end2:
	.size	_ZN8rajaperf9polybench14poly_2mm_1_lamILm32ELm8EZNS0_13POLYBENCH_2MM17runHipVariantImplILm256EEEvNS_9VariantIDEEUlllE_EEvllT1_, .Lfunc_end2-_ZN8rajaperf9polybench14poly_2mm_1_lamILm32ELm8EZNS0_13POLYBENCH_2MM17runHipVariantImplILm256EEEvNS_9VariantIDEEUlllE_EEvllT1_
                                        ; -- End function
	.set _ZN8rajaperf9polybench14poly_2mm_1_lamILm32ELm8EZNS0_13POLYBENCH_2MM17runHipVariantImplILm256EEEvNS_9VariantIDEEUlllE_EEvllT1_.num_vgpr, 14
	.set _ZN8rajaperf9polybench14poly_2mm_1_lamILm32ELm8EZNS0_13POLYBENCH_2MM17runHipVariantImplILm256EEEvNS_9VariantIDEEUlllE_EEvllT1_.num_agpr, 0
	.set _ZN8rajaperf9polybench14poly_2mm_1_lamILm32ELm8EZNS0_13POLYBENCH_2MM17runHipVariantImplILm256EEEvNS_9VariantIDEEUlllE_EEvllT1_.numbered_sgpr, 21
	.set _ZN8rajaperf9polybench14poly_2mm_1_lamILm32ELm8EZNS0_13POLYBENCH_2MM17runHipVariantImplILm256EEEvNS_9VariantIDEEUlllE_EEvllT1_.num_named_barrier, 0
	.set _ZN8rajaperf9polybench14poly_2mm_1_lamILm32ELm8EZNS0_13POLYBENCH_2MM17runHipVariantImplILm256EEEvNS_9VariantIDEEUlllE_EEvllT1_.private_seg_size, 0
	.set _ZN8rajaperf9polybench14poly_2mm_1_lamILm32ELm8EZNS0_13POLYBENCH_2MM17runHipVariantImplILm256EEEvNS_9VariantIDEEUlllE_EEvllT1_.uses_vcc, 1
	.set _ZN8rajaperf9polybench14poly_2mm_1_lamILm32ELm8EZNS0_13POLYBENCH_2MM17runHipVariantImplILm256EEEvNS_9VariantIDEEUlllE_EEvllT1_.uses_flat_scratch, 0
	.set _ZN8rajaperf9polybench14poly_2mm_1_lamILm32ELm8EZNS0_13POLYBENCH_2MM17runHipVariantImplILm256EEEvNS_9VariantIDEEUlllE_EEvllT1_.has_dyn_sized_stack, 0
	.set _ZN8rajaperf9polybench14poly_2mm_1_lamILm32ELm8EZNS0_13POLYBENCH_2MM17runHipVariantImplILm256EEEvNS_9VariantIDEEUlllE_EEvllT1_.has_recursion, 0
	.set _ZN8rajaperf9polybench14poly_2mm_1_lamILm32ELm8EZNS0_13POLYBENCH_2MM17runHipVariantImplILm256EEEvNS_9VariantIDEEUlllE_EEvllT1_.has_indirect_call, 0
	.section	.AMDGPU.csdata,"",@progbits
; Kernel info:
; codeLenInByte = 328
; TotalNumSgprs: 23
; NumVgprs: 14
; ScratchSize: 0
; MemoryBound: 0
; FloatMode: 240
; IeeeMode: 1
; LDSByteSize: 0 bytes/workgroup (compile time only)
; SGPRBlocks: 0
; VGPRBlocks: 0
; NumSGPRsForWavesPerEU: 23
; NumVGPRsForWavesPerEU: 14
; NamedBarCnt: 0
; Occupancy: 16
; WaveLimiterHint : 0
; COMPUTE_PGM_RSRC2:SCRATCH_EN: 0
; COMPUTE_PGM_RSRC2:USER_SGPR: 2
; COMPUTE_PGM_RSRC2:TRAP_HANDLER: 0
; COMPUTE_PGM_RSRC2:TGID_X_EN: 1
; COMPUTE_PGM_RSRC2:TGID_Y_EN: 1
; COMPUTE_PGM_RSRC2:TGID_Z_EN: 0
; COMPUTE_PGM_RSRC2:TIDIG_COMP_CNT: 1
	.section	.text._ZN8rajaperf9polybench14poly_2mm_2_lamILm32ELm8EZNS0_13POLYBENCH_2MM17runHipVariantImplILm256EEEvNS_9VariantIDEEUlllE0_EEvllT1_,"axG",@progbits,_ZN8rajaperf9polybench14poly_2mm_2_lamILm32ELm8EZNS0_13POLYBENCH_2MM17runHipVariantImplILm256EEEvNS_9VariantIDEEUlllE0_EEvllT1_,comdat
	.protected	_ZN8rajaperf9polybench14poly_2mm_2_lamILm32ELm8EZNS0_13POLYBENCH_2MM17runHipVariantImplILm256EEEvNS_9VariantIDEEUlllE0_EEvllT1_ ; -- Begin function _ZN8rajaperf9polybench14poly_2mm_2_lamILm32ELm8EZNS0_13POLYBENCH_2MM17runHipVariantImplILm256EEEvNS_9VariantIDEEUlllE0_EEvllT1_
	.globl	_ZN8rajaperf9polybench14poly_2mm_2_lamILm32ELm8EZNS0_13POLYBENCH_2MM17runHipVariantImplILm256EEEvNS_9VariantIDEEUlllE0_EEvllT1_
	.p2align	8
	.type	_ZN8rajaperf9polybench14poly_2mm_2_lamILm32ELm8EZNS0_13POLYBENCH_2MM17runHipVariantImplILm256EEEvNS_9VariantIDEEUlllE0_EEvllT1_,@function
_ZN8rajaperf9polybench14poly_2mm_2_lamILm32ELm8EZNS0_13POLYBENCH_2MM17runHipVariantImplILm256EEEvNS_9VariantIDEEUlllE0_EEvllT1_: ; @_ZN8rajaperf9polybench14poly_2mm_2_lamILm32ELm8EZNS0_13POLYBENCH_2MM17runHipVariantImplILm256EEEvNS_9VariantIDEEUlllE0_EEvllT1_
; %bb.0:
	s_load_b512 s[4:19], s[0:1], 0x0
	s_wait_xcnt 0x0
	s_bfe_u32 s1, ttmp6, 0x4000c
	s_bfe_u32 s2, ttmp6, 0x40010
	s_add_co_i32 s1, s1, 1
	s_add_co_i32 s2, s2, 1
	s_and_b32 s0, ttmp6, 15
	s_mul_i32 s1, ttmp9, s1
	s_mul_i32 s2, ttmp7, s2
	s_bfe_u32 s3, ttmp6, 0x40004
	s_add_co_i32 s20, s0, s1
	s_getreg_b32 s0, hwreg(HW_REG_IB_STS2, 6, 4)
	s_add_co_i32 s3, s3, s2
	v_bfe_u32 v4, v0, 10, 10
	v_mov_b32_e32 v5, 0
	s_cmp_eq_u32 s0, 0
	s_mov_b32 s1, 0
	s_cselect_b32 s0, ttmp7, s3
	s_delay_alu instid0(VALU_DEP_1) | instid1(SALU_CYCLE_1)
	v_lshl_add_u64 v[2:3], s[0:1], 3, v[4:5]
	v_and_b32_e32 v4, 0x3ff, v0
	s_cselect_b32 s0, ttmp9, s20
	s_delay_alu instid0(SALU_CYCLE_1) | instskip(SKIP_3) | instid1(VALU_DEP_1)
	s_lshl_b64 s[0:1], s[0:1], 5
	s_wait_kmcnt 0x0
	v_cmp_gt_i64_e32 vcc_lo, s[4:5], v[2:3]
	v_add_nc_u64_e32 v[0:1], s[0:1], v[4:5]
	v_cmp_gt_i64_e64 s0, s[6:7], v[0:1]
	s_and_b32 s0, vcc_lo, s0
	s_delay_alu instid0(SALU_CYCLE_1)
	s_and_saveexec_b32 s1, s0
	s_cbranch_execz .LBB3_5
; %bb.1:
	v_cmp_lt_i64_e64 s0, s[10:11], 1
	v_mov_b64_e32 v[4:5], s[8:9]
	s_and_b32 vcc_lo, exec_lo, s0
	s_cbranch_vccnz .LBB3_4
; %bb.2:
	v_mul_u64_e32 v[4:5], s[10:11], v[2:3]
	v_lshl_add_u64 v[6:7], v[0:1], 3, s[14:15]
	s_lshl_b64 s[0:1], s[16:17], 3
	s_delay_alu instid0(VALU_DEP_2)
	v_lshl_add_u64 v[8:9], v[4:5], 3, s[12:13]
	v_mov_b64_e32 v[4:5], s[8:9]
.LBB3_3:                                ; =>This Inner Loop Header: Depth=1
	global_load_b64 v[10:11], v[8:9], off
	global_load_b64 v[12:13], v[6:7], off
	s_wait_xcnt 0x1
	v_add_nc_u64_e32 v[8:9], 8, v[8:9]
	s_wait_xcnt 0x0
	v_add_nc_u64_e32 v[6:7], s[0:1], v[6:7]
	s_add_nc_u64 s[10:11], s[10:11], -1
	s_delay_alu instid0(SALU_CYCLE_1)
	s_cmp_lg_u64 s[10:11], 0
	s_wait_loadcnt 0x0
	v_fmac_f64_e32 v[4:5], v[10:11], v[12:13]
	s_cbranch_scc1 .LBB3_3
.LBB3_4:
	v_mul_u64_e32 v[2:3], s[16:17], v[2:3]
	v_lshl_add_u64 v[0:1], v[0:1], 3, s[18:19]
	s_delay_alu instid0(VALU_DEP_1)
	v_lshl_add_u64 v[0:1], v[2:3], 3, v[0:1]
	global_store_b64 v[0:1], v[4:5], off
.LBB3_5:
	s_endpgm
	.section	.rodata,"a",@progbits
	.p2align	6, 0x0
	.amdhsa_kernel _ZN8rajaperf9polybench14poly_2mm_2_lamILm32ELm8EZNS0_13POLYBENCH_2MM17runHipVariantImplILm256EEEvNS_9VariantIDEEUlllE0_EEvllT1_
		.amdhsa_group_segment_fixed_size 0
		.amdhsa_private_segment_fixed_size 0
		.amdhsa_kernarg_size 64
		.amdhsa_user_sgpr_count 2
		.amdhsa_user_sgpr_dispatch_ptr 0
		.amdhsa_user_sgpr_queue_ptr 0
		.amdhsa_user_sgpr_kernarg_segment_ptr 1
		.amdhsa_user_sgpr_dispatch_id 0
		.amdhsa_user_sgpr_kernarg_preload_length 0
		.amdhsa_user_sgpr_kernarg_preload_offset 0
		.amdhsa_user_sgpr_private_segment_size 0
		.amdhsa_wavefront_size32 1
		.amdhsa_uses_dynamic_stack 0
		.amdhsa_enable_private_segment 0
		.amdhsa_system_sgpr_workgroup_id_x 1
		.amdhsa_system_sgpr_workgroup_id_y 1
		.amdhsa_system_sgpr_workgroup_id_z 0
		.amdhsa_system_sgpr_workgroup_info 0
		.amdhsa_system_vgpr_workitem_id 1
		.amdhsa_next_free_vgpr 14
		.amdhsa_next_free_sgpr 21
		.amdhsa_named_barrier_count 0
		.amdhsa_reserve_vcc 1
		.amdhsa_float_round_mode_32 0
		.amdhsa_float_round_mode_16_64 0
		.amdhsa_float_denorm_mode_32 3
		.amdhsa_float_denorm_mode_16_64 3
		.amdhsa_fp16_overflow 0
		.amdhsa_memory_ordered 1
		.amdhsa_forward_progress 1
		.amdhsa_inst_pref_size 3
		.amdhsa_round_robin_scheduling 0
		.amdhsa_exception_fp_ieee_invalid_op 0
		.amdhsa_exception_fp_denorm_src 0
		.amdhsa_exception_fp_ieee_div_zero 0
		.amdhsa_exception_fp_ieee_overflow 0
		.amdhsa_exception_fp_ieee_underflow 0
		.amdhsa_exception_fp_ieee_inexact 0
		.amdhsa_exception_int_div_zero 0
	.end_amdhsa_kernel
	.section	.text._ZN8rajaperf9polybench14poly_2mm_2_lamILm32ELm8EZNS0_13POLYBENCH_2MM17runHipVariantImplILm256EEEvNS_9VariantIDEEUlllE0_EEvllT1_,"axG",@progbits,_ZN8rajaperf9polybench14poly_2mm_2_lamILm32ELm8EZNS0_13POLYBENCH_2MM17runHipVariantImplILm256EEEvNS_9VariantIDEEUlllE0_EEvllT1_,comdat
.Lfunc_end3:
	.size	_ZN8rajaperf9polybench14poly_2mm_2_lamILm32ELm8EZNS0_13POLYBENCH_2MM17runHipVariantImplILm256EEEvNS_9VariantIDEEUlllE0_EEvllT1_, .Lfunc_end3-_ZN8rajaperf9polybench14poly_2mm_2_lamILm32ELm8EZNS0_13POLYBENCH_2MM17runHipVariantImplILm256EEEvNS_9VariantIDEEUlllE0_EEvllT1_
                                        ; -- End function
	.set _ZN8rajaperf9polybench14poly_2mm_2_lamILm32ELm8EZNS0_13POLYBENCH_2MM17runHipVariantImplILm256EEEvNS_9VariantIDEEUlllE0_EEvllT1_.num_vgpr, 14
	.set _ZN8rajaperf9polybench14poly_2mm_2_lamILm32ELm8EZNS0_13POLYBENCH_2MM17runHipVariantImplILm256EEEvNS_9VariantIDEEUlllE0_EEvllT1_.num_agpr, 0
	.set _ZN8rajaperf9polybench14poly_2mm_2_lamILm32ELm8EZNS0_13POLYBENCH_2MM17runHipVariantImplILm256EEEvNS_9VariantIDEEUlllE0_EEvllT1_.numbered_sgpr, 21
	.set _ZN8rajaperf9polybench14poly_2mm_2_lamILm32ELm8EZNS0_13POLYBENCH_2MM17runHipVariantImplILm256EEEvNS_9VariantIDEEUlllE0_EEvllT1_.num_named_barrier, 0
	.set _ZN8rajaperf9polybench14poly_2mm_2_lamILm32ELm8EZNS0_13POLYBENCH_2MM17runHipVariantImplILm256EEEvNS_9VariantIDEEUlllE0_EEvllT1_.private_seg_size, 0
	.set _ZN8rajaperf9polybench14poly_2mm_2_lamILm32ELm8EZNS0_13POLYBENCH_2MM17runHipVariantImplILm256EEEvNS_9VariantIDEEUlllE0_EEvllT1_.uses_vcc, 1
	.set _ZN8rajaperf9polybench14poly_2mm_2_lamILm32ELm8EZNS0_13POLYBENCH_2MM17runHipVariantImplILm256EEEvNS_9VariantIDEEUlllE0_EEvllT1_.uses_flat_scratch, 0
	.set _ZN8rajaperf9polybench14poly_2mm_2_lamILm32ELm8EZNS0_13POLYBENCH_2MM17runHipVariantImplILm256EEEvNS_9VariantIDEEUlllE0_EEvllT1_.has_dyn_sized_stack, 0
	.set _ZN8rajaperf9polybench14poly_2mm_2_lamILm32ELm8EZNS0_13POLYBENCH_2MM17runHipVariantImplILm256EEEvNS_9VariantIDEEUlllE0_EEvllT1_.has_recursion, 0
	.set _ZN8rajaperf9polybench14poly_2mm_2_lamILm32ELm8EZNS0_13POLYBENCH_2MM17runHipVariantImplILm256EEEvNS_9VariantIDEEUlllE0_EEvllT1_.has_indirect_call, 0
	.section	.AMDGPU.csdata,"",@progbits
; Kernel info:
; codeLenInByte = 316
; TotalNumSgprs: 23
; NumVgprs: 14
; ScratchSize: 0
; MemoryBound: 0
; FloatMode: 240
; IeeeMode: 1
; LDSByteSize: 0 bytes/workgroup (compile time only)
; SGPRBlocks: 0
; VGPRBlocks: 0
; NumSGPRsForWavesPerEU: 23
; NumVGPRsForWavesPerEU: 14
; NamedBarCnt: 0
; Occupancy: 16
; WaveLimiterHint : 0
; COMPUTE_PGM_RSRC2:SCRATCH_EN: 0
; COMPUTE_PGM_RSRC2:USER_SGPR: 2
; COMPUTE_PGM_RSRC2:TRAP_HANDLER: 0
; COMPUTE_PGM_RSRC2:TGID_X_EN: 1
; COMPUTE_PGM_RSRC2:TGID_Y_EN: 1
; COMPUTE_PGM_RSRC2:TGID_Z_EN: 0
; COMPUTE_PGM_RSRC2:TIDIG_COMP_CNT: 1
	.section	.text._ZN4RAJA8internal22HipKernelLauncherFixedILi256ENS0_8LoopDataIN4camp5tupleIJNS_4SpanINS_9Iterators16numeric_iteratorIllPlEElEESA_SA_EEENS4_IJdEEENS3_9resources2v13HipEJZN8rajaperf9polybench13POLYBENCH_2MM17runHipVariantImplILm256EEEvNSG_9VariantIDEEUlRdE_ZNSJ_ILm256EEEvSK_EUllllSL_E_ZNSJ_ILm256EEEvSK_EUlllSL_E_EEENS0_24HipStatementListExecutorISP_NS3_4listIJNS_9statement3ForILl0ENS_6policy3hip11hip_indexerINS_17iteration_mapping6DirectELNS_23kernel_sync_requirementE0EJNS_3hip11IndexGlobalILNS_9named_dimE1ELi8ELi0EEEEEEJNST_ILl1ENSW_ISY_LSZ_0EJNS11_ILS12_0ELi32ELi0EEEEEEJNSS_6LambdaILl0EJNSR_IJNS0_9LambdaArgINS0_18lambda_arg_param_tELl0EEEEEEEEENST_ILl2ENSU_10sequential8seq_execEJNS17_ILl1EJNSR_IJNS18_INS0_16lambda_arg_seg_tELl0EEENS18_IS1F_Ll1EEENS18_IS1F_Ll2EEEEEES1B_EEEEEENS17_ILl2EJNSR_IJS1G_S1H_EEES1B_EEEEEEEEEEEENS0_9LoopTypesINSR_IJvvvEEES1S_EEEEEEvT0_,"axG",@progbits,_ZN4RAJA8internal22HipKernelLauncherFixedILi256ENS0_8LoopDataIN4camp5tupleIJNS_4SpanINS_9Iterators16numeric_iteratorIllPlEElEESA_SA_EEENS4_IJdEEENS3_9resources2v13HipEJZN8rajaperf9polybench13POLYBENCH_2MM17runHipVariantImplILm256EEEvNSG_9VariantIDEEUlRdE_ZNSJ_ILm256EEEvSK_EUllllSL_E_ZNSJ_ILm256EEEvSK_EUlllSL_E_EEENS0_24HipStatementListExecutorISP_NS3_4listIJNS_9statement3ForILl0ENS_6policy3hip11hip_indexerINS_17iteration_mapping6DirectELNS_23kernel_sync_requirementE0EJNS_3hip11IndexGlobalILNS_9named_dimE1ELi8ELi0EEEEEEJNST_ILl1ENSW_ISY_LSZ_0EJNS11_ILS12_0ELi32ELi0EEEEEEJNSS_6LambdaILl0EJNSR_IJNS0_9LambdaArgINS0_18lambda_arg_param_tELl0EEEEEEEEENST_ILl2ENSU_10sequential8seq_execEJNS17_ILl1EJNSR_IJNS18_INS0_16lambda_arg_seg_tELl0EEENS18_IS1F_Ll1EEENS18_IS1F_Ll2EEEEEES1B_EEEEEENS17_ILl2EJNSR_IJS1G_S1H_EEES1B_EEEEEEEEEEEENS0_9LoopTypesINSR_IJvvvEEES1S_EEEEEEvT0_,comdat
	.protected	_ZN4RAJA8internal22HipKernelLauncherFixedILi256ENS0_8LoopDataIN4camp5tupleIJNS_4SpanINS_9Iterators16numeric_iteratorIllPlEElEESA_SA_EEENS4_IJdEEENS3_9resources2v13HipEJZN8rajaperf9polybench13POLYBENCH_2MM17runHipVariantImplILm256EEEvNSG_9VariantIDEEUlRdE_ZNSJ_ILm256EEEvSK_EUllllSL_E_ZNSJ_ILm256EEEvSK_EUlllSL_E_EEENS0_24HipStatementListExecutorISP_NS3_4listIJNS_9statement3ForILl0ENS_6policy3hip11hip_indexerINS_17iteration_mapping6DirectELNS_23kernel_sync_requirementE0EJNS_3hip11IndexGlobalILNS_9named_dimE1ELi8ELi0EEEEEEJNST_ILl1ENSW_ISY_LSZ_0EJNS11_ILS12_0ELi32ELi0EEEEEEJNSS_6LambdaILl0EJNSR_IJNS0_9LambdaArgINS0_18lambda_arg_param_tELl0EEEEEEEEENST_ILl2ENSU_10sequential8seq_execEJNS17_ILl1EJNSR_IJNS18_INS0_16lambda_arg_seg_tELl0EEENS18_IS1F_Ll1EEENS18_IS1F_Ll2EEEEEES1B_EEEEEENS17_ILl2EJNSR_IJS1G_S1H_EEES1B_EEEEEEEEEEEENS0_9LoopTypesINSR_IJvvvEEES1S_EEEEEEvT0_ ; -- Begin function _ZN4RAJA8internal22HipKernelLauncherFixedILi256ENS0_8LoopDataIN4camp5tupleIJNS_4SpanINS_9Iterators16numeric_iteratorIllPlEElEESA_SA_EEENS4_IJdEEENS3_9resources2v13HipEJZN8rajaperf9polybench13POLYBENCH_2MM17runHipVariantImplILm256EEEvNSG_9VariantIDEEUlRdE_ZNSJ_ILm256EEEvSK_EUllllSL_E_ZNSJ_ILm256EEEvSK_EUlllSL_E_EEENS0_24HipStatementListExecutorISP_NS3_4listIJNS_9statement3ForILl0ENS_6policy3hip11hip_indexerINS_17iteration_mapping6DirectELNS_23kernel_sync_requirementE0EJNS_3hip11IndexGlobalILNS_9named_dimE1ELi8ELi0EEEEEEJNST_ILl1ENSW_ISY_LSZ_0EJNS11_ILS12_0ELi32ELi0EEEEEEJNSS_6LambdaILl0EJNSR_IJNS0_9LambdaArgINS0_18lambda_arg_param_tELl0EEEEEEEEENST_ILl2ENSU_10sequential8seq_execEJNS17_ILl1EJNSR_IJNS18_INS0_16lambda_arg_seg_tELl0EEENS18_IS1F_Ll1EEENS18_IS1F_Ll2EEEEEES1B_EEEEEENS17_ILl2EJNSR_IJS1G_S1H_EEES1B_EEEEEEEEEEEENS0_9LoopTypesINSR_IJvvvEEES1S_EEEEEEvT0_
	.globl	_ZN4RAJA8internal22HipKernelLauncherFixedILi256ENS0_8LoopDataIN4camp5tupleIJNS_4SpanINS_9Iterators16numeric_iteratorIllPlEElEESA_SA_EEENS4_IJdEEENS3_9resources2v13HipEJZN8rajaperf9polybench13POLYBENCH_2MM17runHipVariantImplILm256EEEvNSG_9VariantIDEEUlRdE_ZNSJ_ILm256EEEvSK_EUllllSL_E_ZNSJ_ILm256EEEvSK_EUlllSL_E_EEENS0_24HipStatementListExecutorISP_NS3_4listIJNS_9statement3ForILl0ENS_6policy3hip11hip_indexerINS_17iteration_mapping6DirectELNS_23kernel_sync_requirementE0EJNS_3hip11IndexGlobalILNS_9named_dimE1ELi8ELi0EEEEEEJNST_ILl1ENSW_ISY_LSZ_0EJNS11_ILS12_0ELi32ELi0EEEEEEJNSS_6LambdaILl0EJNSR_IJNS0_9LambdaArgINS0_18lambda_arg_param_tELl0EEEEEEEEENST_ILl2ENSU_10sequential8seq_execEJNS17_ILl1EJNSR_IJNS18_INS0_16lambda_arg_seg_tELl0EEENS18_IS1F_Ll1EEENS18_IS1F_Ll2EEEEEES1B_EEEEEENS17_ILl2EJNSR_IJS1G_S1H_EEES1B_EEEEEEEEEEEENS0_9LoopTypesINSR_IJvvvEEES1S_EEEEEEvT0_
	.p2align	8
	.type	_ZN4RAJA8internal22HipKernelLauncherFixedILi256ENS0_8LoopDataIN4camp5tupleIJNS_4SpanINS_9Iterators16numeric_iteratorIllPlEElEESA_SA_EEENS4_IJdEEENS3_9resources2v13HipEJZN8rajaperf9polybench13POLYBENCH_2MM17runHipVariantImplILm256EEEvNSG_9VariantIDEEUlRdE_ZNSJ_ILm256EEEvSK_EUllllSL_E_ZNSJ_ILm256EEEvSK_EUlllSL_E_EEENS0_24HipStatementListExecutorISP_NS3_4listIJNS_9statement3ForILl0ENS_6policy3hip11hip_indexerINS_17iteration_mapping6DirectELNS_23kernel_sync_requirementE0EJNS_3hip11IndexGlobalILNS_9named_dimE1ELi8ELi0EEEEEEJNST_ILl1ENSW_ISY_LSZ_0EJNS11_ILS12_0ELi32ELi0EEEEEEJNSS_6LambdaILl0EJNSR_IJNS0_9LambdaArgINS0_18lambda_arg_param_tELl0EEEEEEEEENST_ILl2ENSU_10sequential8seq_execEJNS17_ILl1EJNSR_IJNS18_INS0_16lambda_arg_seg_tELl0EEENS18_IS1F_Ll1EEENS18_IS1F_Ll2EEEEEES1B_EEEEEENS17_ILl2EJNSR_IJS1G_S1H_EEES1B_EEEEEEEEEEEENS0_9LoopTypesINSR_IJvvvEEES1S_EEEEEEvT0_,@function
_ZN4RAJA8internal22HipKernelLauncherFixedILi256ENS0_8LoopDataIN4camp5tupleIJNS_4SpanINS_9Iterators16numeric_iteratorIllPlEElEESA_SA_EEENS4_IJdEEENS3_9resources2v13HipEJZN8rajaperf9polybench13POLYBENCH_2MM17runHipVariantImplILm256EEEvNSG_9VariantIDEEUlRdE_ZNSJ_ILm256EEEvSK_EUllllSL_E_ZNSJ_ILm256EEEvSK_EUlllSL_E_EEENS0_24HipStatementListExecutorISP_NS3_4listIJNS_9statement3ForILl0ENS_6policy3hip11hip_indexerINS_17iteration_mapping6DirectELNS_23kernel_sync_requirementE0EJNS_3hip11IndexGlobalILNS_9named_dimE1ELi8ELi0EEEEEEJNST_ILl1ENSW_ISY_LSZ_0EJNS11_ILS12_0ELi32ELi0EEEEEEJNSS_6LambdaILl0EJNSR_IJNS0_9LambdaArgINS0_18lambda_arg_param_tELl0EEEEEEEEENST_ILl2ENSU_10sequential8seq_execEJNS17_ILl1EJNSR_IJNS18_INS0_16lambda_arg_seg_tELl0EEENS18_IS1F_Ll1EEENS18_IS1F_Ll2EEEEEES1B_EEEEEENS17_ILl2EJNSR_IJS1G_S1H_EEES1B_EEEEEEEEEEEENS0_9LoopTypesINSR_IJvvvEEES1S_EEEEEEvT0_: ; @_ZN4RAJA8internal22HipKernelLauncherFixedILi256ENS0_8LoopDataIN4camp5tupleIJNS_4SpanINS_9Iterators16numeric_iteratorIllPlEElEESA_SA_EEENS4_IJdEEENS3_9resources2v13HipEJZN8rajaperf9polybench13POLYBENCH_2MM17runHipVariantImplILm256EEEvNSG_9VariantIDEEUlRdE_ZNSJ_ILm256EEEvSK_EUllllSL_E_ZNSJ_ILm256EEEvSK_EUlllSL_E_EEENS0_24HipStatementListExecutorISP_NS3_4listIJNS_9statement3ForILl0ENS_6policy3hip11hip_indexerINS_17iteration_mapping6DirectELNS_23kernel_sync_requirementE0EJNS_3hip11IndexGlobalILNS_9named_dimE1ELi8ELi0EEEEEEJNST_ILl1ENSW_ISY_LSZ_0EJNS11_ILS12_0ELi32ELi0EEEEEEJNSS_6LambdaILl0EJNSR_IJNS0_9LambdaArgINS0_18lambda_arg_param_tELl0EEEEEEEEENST_ILl2ENSU_10sequential8seq_execEJNS17_ILl1EJNSR_IJNS18_INS0_16lambda_arg_seg_tELl0EEENS18_IS1F_Ll1EEENS18_IS1F_Ll2EEEEEES1B_EEEEEENS17_ILl2EJNSR_IJS1G_S1H_EEES1B_EEEEEEEEEEEENS0_9LoopTypesINSR_IJvvvEEES1S_EEEEEEvT0_
; %bb.0:
	s_bfe_u32 s2, ttmp6, 0x4000c
	s_bfe_u32 s16, ttmp6, 0x40010
	s_add_co_i32 s2, s2, 1
	s_clause 0x1
	s_load_b256 s[4:11], s[0:1], 0x0
	s_load_b128 s[12:15], s[0:1], 0x20
	s_and_b32 s3, ttmp6, 15
	s_mul_i32 s2, ttmp9, s2
	s_add_co_i32 s16, s16, 1
	s_add_co_i32 s3, s3, s2
	s_mul_i32 s2, ttmp7, s16
	s_bfe_u32 s16, ttmp6, 0x40004
	s_getreg_b32 s17, hwreg(HW_REG_IB_STS2, 6, 4)
	v_mov_b32_e32 v7, 0
	v_bfe_u32 v6, v0, 10, 10
	s_add_co_i32 s16, s16, s2
	s_cmp_eq_u32 s17, 0
	s_mov_b32 s17, 0
	s_cselect_b32 s16, ttmp7, s16
	s_load_b64 s[18:19], s[0:1], 0x30
	v_lshl_add_u64 v[4:5], s[16:17], 3, v[6:7]
	v_and_b32_e32 v6, 0x3ff, v0
	s_cselect_b32 s16, ttmp9, s3
	s_delay_alu instid0(SALU_CYCLE_1)
	s_lshl_b64 s[2:3], s[16:17], 5
	s_delay_alu instid0(VALU_DEP_1) | instid1(SALU_CYCLE_1)
	v_add_nc_u64_e32 v[0:1], s[2:3], v[6:7]
	s_wait_kmcnt 0x0
	s_sub_nc_u64 s[2:3], s[6:7], s[4:5]
	s_sub_nc_u64 s[6:7], s[10:11], s[8:9]
	v_cmp_gt_i64_e32 vcc_lo, s[2:3], v[4:5]
	s_sub_nc_u64 s[10:11], s[14:15], s[12:13]
	v_add_nc_u64_e32 v[4:5], s[4:5], v[4:5]
	v_cmp_lt_i64_e64 s3, s[10:11], 1
	v_cmp_gt_i64_e64 s2, s[6:7], v[0:1]
	s_and_b32 s14, vcc_lo, s2
	s_and_b32 vcc_lo, exec_lo, s3
	v_cndmask_b32_e64 v3, s19, 0, s14
	v_cndmask_b32_e64 v2, s18, 0, s14
	s_cbranch_vccnz .LBB4_5
; %bb.1:
	s_clause 0x1
	s_load_b64 s[2:3], s[0:1], 0x68
	s_load_b64 s[18:19], s[0:1], 0xb0
	s_lshl_b64 s[16:17], s[16:17], 8
	v_lshlrev_b32_e32 v6, 3, v6
	s_wait_kmcnt 0x0
	v_mul_u64_e32 v[8:9], s[2:3], v[4:5]
	s_clause 0x1
	s_load_b64 s[2:3], s[0:1], 0x98
	s_load_b128 s[4:7], s[0:1], 0x48
	s_mul_u64 s[20:21], s[12:13], s[18:19]
	s_lshl_b64 s[12:13], s[12:13], 3
	s_lshl_b64 s[20:21], s[20:21], 3
	s_delay_alu instid0(SALU_CYCLE_1) | instskip(SKIP_1) | instid1(SALU_CYCLE_1)
	s_add_nc_u64 s[16:17], s[20:21], s[16:17]
	s_lshl_b64 s[20:21], s[8:9], 3
	s_add_nc_u64 s[16:17], s[16:17], s[20:21]
	s_wait_kmcnt 0x0
	s_add_nc_u64 s[2:3], s[2:3], s[16:17]
	s_add_nc_u64 s[6:7], s[6:7], s[12:13]
	v_add_nc_u64_e32 v[6:7], s[2:3], v[6:7]
	s_lshl_b64 s[2:3], s[18:19], 3
	s_delay_alu instid0(VALU_DEP_2)
	v_lshl_add_u64 v[8:9], v[8:9], 3, s[6:7]
	s_mov_b64 s[6:7], 0
	s_branch .LBB4_3
.LBB4_2:                                ;   in Loop: Header=BB4_3 Depth=1
	s_or_b32 exec_lo, exec_lo, s12
	s_add_nc_u64 s[6:7], s[6:7], 1
	v_add_nc_u64_e32 v[8:9], 8, v[8:9]
	v_cmp_lt_i64_e64 s12, s[6:7], s[10:11]
	v_add_nc_u64_e32 v[6:7], s[2:3], v[6:7]
	s_and_b32 vcc_lo, exec_lo, s12
	s_cbranch_vccz .LBB4_5
.LBB4_3:                                ; =>This Inner Loop Header: Depth=1
	s_and_saveexec_b32 s12, s14
	s_cbranch_execz .LBB4_2
; %bb.4:                                ;   in Loop: Header=BB4_3 Depth=1
	global_load_b64 v[10:11], v[8:9], off
	global_load_b64 v[12:13], v[6:7], off
	s_wait_loadcnt 0x1
	v_mul_f64_e32 v[10:11], s[4:5], v[10:11]
	s_wait_loadcnt 0x0
	s_delay_alu instid0(VALU_DEP_1)
	v_fmac_f64_e32 v[2:3], v[10:11], v[12:13]
	s_branch .LBB4_2
.LBB4_5:
	s_clause 0x1
	s_load_b64 s[2:3], s[0:1], 0xe0
	s_load_b64 s[4:5], s[0:1], 0xf8
	s_wait_xcnt 0x0
	s_and_saveexec_b32 s0, s14
	s_cbranch_execz .LBB4_7
; %bb.6:
	s_wait_kmcnt 0x0
	v_mul_u64_e32 v[4:5], s[4:5], v[4:5]
	v_lshl_add_u64 v[0:1], v[0:1], 3, s[2:3]
	s_delay_alu instid0(VALU_DEP_1) | instskip(NEXT) | instid1(VALU_DEP_1)
	v_lshl_add_u64 v[0:1], s[8:9], 3, v[0:1]
	v_lshl_add_u64 v[0:1], v[4:5], 3, v[0:1]
	global_store_b64 v[0:1], v[2:3], off
.LBB4_7:
	s_endpgm
	.section	.rodata,"a",@progbits
	.p2align	6, 0x0
	.amdhsa_kernel _ZN4RAJA8internal22HipKernelLauncherFixedILi256ENS0_8LoopDataIN4camp5tupleIJNS_4SpanINS_9Iterators16numeric_iteratorIllPlEElEESA_SA_EEENS4_IJdEEENS3_9resources2v13HipEJZN8rajaperf9polybench13POLYBENCH_2MM17runHipVariantImplILm256EEEvNSG_9VariantIDEEUlRdE_ZNSJ_ILm256EEEvSK_EUllllSL_E_ZNSJ_ILm256EEEvSK_EUlllSL_E_EEENS0_24HipStatementListExecutorISP_NS3_4listIJNS_9statement3ForILl0ENS_6policy3hip11hip_indexerINS_17iteration_mapping6DirectELNS_23kernel_sync_requirementE0EJNS_3hip11IndexGlobalILNS_9named_dimE1ELi8ELi0EEEEEEJNST_ILl1ENSW_ISY_LSZ_0EJNS11_ILS12_0ELi32ELi0EEEEEEJNSS_6LambdaILl0EJNSR_IJNS0_9LambdaArgINS0_18lambda_arg_param_tELl0EEEEEEEEENST_ILl2ENSU_10sequential8seq_execEJNS17_ILl1EJNSR_IJNS18_INS0_16lambda_arg_seg_tELl0EEENS18_IS1F_Ll1EEENS18_IS1F_Ll2EEEEEES1B_EEEEEENS17_ILl2EJNSR_IJS1G_S1H_EEES1B_EEEEEEEEEEEENS0_9LoopTypesINSR_IJvvvEEES1S_EEEEEEvT0_
		.amdhsa_group_segment_fixed_size 0
		.amdhsa_private_segment_fixed_size 0
		.amdhsa_kernarg_size 336
		.amdhsa_user_sgpr_count 2
		.amdhsa_user_sgpr_dispatch_ptr 0
		.amdhsa_user_sgpr_queue_ptr 0
		.amdhsa_user_sgpr_kernarg_segment_ptr 1
		.amdhsa_user_sgpr_dispatch_id 0
		.amdhsa_user_sgpr_kernarg_preload_length 0
		.amdhsa_user_sgpr_kernarg_preload_offset 0
		.amdhsa_user_sgpr_private_segment_size 0
		.amdhsa_wavefront_size32 1
		.amdhsa_uses_dynamic_stack 0
		.amdhsa_enable_private_segment 0
		.amdhsa_system_sgpr_workgroup_id_x 1
		.amdhsa_system_sgpr_workgroup_id_y 1
		.amdhsa_system_sgpr_workgroup_id_z 0
		.amdhsa_system_sgpr_workgroup_info 0
		.amdhsa_system_vgpr_workitem_id 1
		.amdhsa_next_free_vgpr 14
		.amdhsa_next_free_sgpr 22
		.amdhsa_named_barrier_count 0
		.amdhsa_reserve_vcc 1
		.amdhsa_float_round_mode_32 0
		.amdhsa_float_round_mode_16_64 0
		.amdhsa_float_denorm_mode_32 3
		.amdhsa_float_denorm_mode_16_64 3
		.amdhsa_fp16_overflow 0
		.amdhsa_memory_ordered 1
		.amdhsa_forward_progress 1
		.amdhsa_inst_pref_size 4
		.amdhsa_round_robin_scheduling 0
		.amdhsa_exception_fp_ieee_invalid_op 0
		.amdhsa_exception_fp_denorm_src 0
		.amdhsa_exception_fp_ieee_div_zero 0
		.amdhsa_exception_fp_ieee_overflow 0
		.amdhsa_exception_fp_ieee_underflow 0
		.amdhsa_exception_fp_ieee_inexact 0
		.amdhsa_exception_int_div_zero 0
	.end_amdhsa_kernel
	.section	.text._ZN4RAJA8internal22HipKernelLauncherFixedILi256ENS0_8LoopDataIN4camp5tupleIJNS_4SpanINS_9Iterators16numeric_iteratorIllPlEElEESA_SA_EEENS4_IJdEEENS3_9resources2v13HipEJZN8rajaperf9polybench13POLYBENCH_2MM17runHipVariantImplILm256EEEvNSG_9VariantIDEEUlRdE_ZNSJ_ILm256EEEvSK_EUllllSL_E_ZNSJ_ILm256EEEvSK_EUlllSL_E_EEENS0_24HipStatementListExecutorISP_NS3_4listIJNS_9statement3ForILl0ENS_6policy3hip11hip_indexerINS_17iteration_mapping6DirectELNS_23kernel_sync_requirementE0EJNS_3hip11IndexGlobalILNS_9named_dimE1ELi8ELi0EEEEEEJNST_ILl1ENSW_ISY_LSZ_0EJNS11_ILS12_0ELi32ELi0EEEEEEJNSS_6LambdaILl0EJNSR_IJNS0_9LambdaArgINS0_18lambda_arg_param_tELl0EEEEEEEEENST_ILl2ENSU_10sequential8seq_execEJNS17_ILl1EJNSR_IJNS18_INS0_16lambda_arg_seg_tELl0EEENS18_IS1F_Ll1EEENS18_IS1F_Ll2EEEEEES1B_EEEEEENS17_ILl2EJNSR_IJS1G_S1H_EEES1B_EEEEEEEEEEEENS0_9LoopTypesINSR_IJvvvEEES1S_EEEEEEvT0_,"axG",@progbits,_ZN4RAJA8internal22HipKernelLauncherFixedILi256ENS0_8LoopDataIN4camp5tupleIJNS_4SpanINS_9Iterators16numeric_iteratorIllPlEElEESA_SA_EEENS4_IJdEEENS3_9resources2v13HipEJZN8rajaperf9polybench13POLYBENCH_2MM17runHipVariantImplILm256EEEvNSG_9VariantIDEEUlRdE_ZNSJ_ILm256EEEvSK_EUllllSL_E_ZNSJ_ILm256EEEvSK_EUlllSL_E_EEENS0_24HipStatementListExecutorISP_NS3_4listIJNS_9statement3ForILl0ENS_6policy3hip11hip_indexerINS_17iteration_mapping6DirectELNS_23kernel_sync_requirementE0EJNS_3hip11IndexGlobalILNS_9named_dimE1ELi8ELi0EEEEEEJNST_ILl1ENSW_ISY_LSZ_0EJNS11_ILS12_0ELi32ELi0EEEEEEJNSS_6LambdaILl0EJNSR_IJNS0_9LambdaArgINS0_18lambda_arg_param_tELl0EEEEEEEEENST_ILl2ENSU_10sequential8seq_execEJNS17_ILl1EJNSR_IJNS18_INS0_16lambda_arg_seg_tELl0EEENS18_IS1F_Ll1EEENS18_IS1F_Ll2EEEEEES1B_EEEEEENS17_ILl2EJNSR_IJS1G_S1H_EEES1B_EEEEEEEEEEEENS0_9LoopTypesINSR_IJvvvEEES1S_EEEEEEvT0_,comdat
.Lfunc_end4:
	.size	_ZN4RAJA8internal22HipKernelLauncherFixedILi256ENS0_8LoopDataIN4camp5tupleIJNS_4SpanINS_9Iterators16numeric_iteratorIllPlEElEESA_SA_EEENS4_IJdEEENS3_9resources2v13HipEJZN8rajaperf9polybench13POLYBENCH_2MM17runHipVariantImplILm256EEEvNSG_9VariantIDEEUlRdE_ZNSJ_ILm256EEEvSK_EUllllSL_E_ZNSJ_ILm256EEEvSK_EUlllSL_E_EEENS0_24HipStatementListExecutorISP_NS3_4listIJNS_9statement3ForILl0ENS_6policy3hip11hip_indexerINS_17iteration_mapping6DirectELNS_23kernel_sync_requirementE0EJNS_3hip11IndexGlobalILNS_9named_dimE1ELi8ELi0EEEEEEJNST_ILl1ENSW_ISY_LSZ_0EJNS11_ILS12_0ELi32ELi0EEEEEEJNSS_6LambdaILl0EJNSR_IJNS0_9LambdaArgINS0_18lambda_arg_param_tELl0EEEEEEEEENST_ILl2ENSU_10sequential8seq_execEJNS17_ILl1EJNSR_IJNS18_INS0_16lambda_arg_seg_tELl0EEENS18_IS1F_Ll1EEENS18_IS1F_Ll2EEEEEES1B_EEEEEENS17_ILl2EJNSR_IJS1G_S1H_EEES1B_EEEEEEEEEEEENS0_9LoopTypesINSR_IJvvvEEES1S_EEEEEEvT0_, .Lfunc_end4-_ZN4RAJA8internal22HipKernelLauncherFixedILi256ENS0_8LoopDataIN4camp5tupleIJNS_4SpanINS_9Iterators16numeric_iteratorIllPlEElEESA_SA_EEENS4_IJdEEENS3_9resources2v13HipEJZN8rajaperf9polybench13POLYBENCH_2MM17runHipVariantImplILm256EEEvNSG_9VariantIDEEUlRdE_ZNSJ_ILm256EEEvSK_EUllllSL_E_ZNSJ_ILm256EEEvSK_EUlllSL_E_EEENS0_24HipStatementListExecutorISP_NS3_4listIJNS_9statement3ForILl0ENS_6policy3hip11hip_indexerINS_17iteration_mapping6DirectELNS_23kernel_sync_requirementE0EJNS_3hip11IndexGlobalILNS_9named_dimE1ELi8ELi0EEEEEEJNST_ILl1ENSW_ISY_LSZ_0EJNS11_ILS12_0ELi32ELi0EEEEEEJNSS_6LambdaILl0EJNSR_IJNS0_9LambdaArgINS0_18lambda_arg_param_tELl0EEEEEEEEENST_ILl2ENSU_10sequential8seq_execEJNS17_ILl1EJNSR_IJNS18_INS0_16lambda_arg_seg_tELl0EEENS18_IS1F_Ll1EEENS18_IS1F_Ll2EEEEEES1B_EEEEEENS17_ILl2EJNSR_IJS1G_S1H_EEES1B_EEEEEEEEEEEENS0_9LoopTypesINSR_IJvvvEEES1S_EEEEEEvT0_
                                        ; -- End function
	.set _ZN4RAJA8internal22HipKernelLauncherFixedILi256ENS0_8LoopDataIN4camp5tupleIJNS_4SpanINS_9Iterators16numeric_iteratorIllPlEElEESA_SA_EEENS4_IJdEEENS3_9resources2v13HipEJZN8rajaperf9polybench13POLYBENCH_2MM17runHipVariantImplILm256EEEvNSG_9VariantIDEEUlRdE_ZNSJ_ILm256EEEvSK_EUllllSL_E_ZNSJ_ILm256EEEvSK_EUlllSL_E_EEENS0_24HipStatementListExecutorISP_NS3_4listIJNS_9statement3ForILl0ENS_6policy3hip11hip_indexerINS_17iteration_mapping6DirectELNS_23kernel_sync_requirementE0EJNS_3hip11IndexGlobalILNS_9named_dimE1ELi8ELi0EEEEEEJNST_ILl1ENSW_ISY_LSZ_0EJNS11_ILS12_0ELi32ELi0EEEEEEJNSS_6LambdaILl0EJNSR_IJNS0_9LambdaArgINS0_18lambda_arg_param_tELl0EEEEEEEEENST_ILl2ENSU_10sequential8seq_execEJNS17_ILl1EJNSR_IJNS18_INS0_16lambda_arg_seg_tELl0EEENS18_IS1F_Ll1EEENS18_IS1F_Ll2EEEEEES1B_EEEEEENS17_ILl2EJNSR_IJS1G_S1H_EEES1B_EEEEEEEEEEEENS0_9LoopTypesINSR_IJvvvEEES1S_EEEEEEvT0_.num_vgpr, 14
	.set _ZN4RAJA8internal22HipKernelLauncherFixedILi256ENS0_8LoopDataIN4camp5tupleIJNS_4SpanINS_9Iterators16numeric_iteratorIllPlEElEESA_SA_EEENS4_IJdEEENS3_9resources2v13HipEJZN8rajaperf9polybench13POLYBENCH_2MM17runHipVariantImplILm256EEEvNSG_9VariantIDEEUlRdE_ZNSJ_ILm256EEEvSK_EUllllSL_E_ZNSJ_ILm256EEEvSK_EUlllSL_E_EEENS0_24HipStatementListExecutorISP_NS3_4listIJNS_9statement3ForILl0ENS_6policy3hip11hip_indexerINS_17iteration_mapping6DirectELNS_23kernel_sync_requirementE0EJNS_3hip11IndexGlobalILNS_9named_dimE1ELi8ELi0EEEEEEJNST_ILl1ENSW_ISY_LSZ_0EJNS11_ILS12_0ELi32ELi0EEEEEEJNSS_6LambdaILl0EJNSR_IJNS0_9LambdaArgINS0_18lambda_arg_param_tELl0EEEEEEEEENST_ILl2ENSU_10sequential8seq_execEJNS17_ILl1EJNSR_IJNS18_INS0_16lambda_arg_seg_tELl0EEENS18_IS1F_Ll1EEENS18_IS1F_Ll2EEEEEES1B_EEEEEENS17_ILl2EJNSR_IJS1G_S1H_EEES1B_EEEEEEEEEEEENS0_9LoopTypesINSR_IJvvvEEES1S_EEEEEEvT0_.num_agpr, 0
	.set _ZN4RAJA8internal22HipKernelLauncherFixedILi256ENS0_8LoopDataIN4camp5tupleIJNS_4SpanINS_9Iterators16numeric_iteratorIllPlEElEESA_SA_EEENS4_IJdEEENS3_9resources2v13HipEJZN8rajaperf9polybench13POLYBENCH_2MM17runHipVariantImplILm256EEEvNSG_9VariantIDEEUlRdE_ZNSJ_ILm256EEEvSK_EUllllSL_E_ZNSJ_ILm256EEEvSK_EUlllSL_E_EEENS0_24HipStatementListExecutorISP_NS3_4listIJNS_9statement3ForILl0ENS_6policy3hip11hip_indexerINS_17iteration_mapping6DirectELNS_23kernel_sync_requirementE0EJNS_3hip11IndexGlobalILNS_9named_dimE1ELi8ELi0EEEEEEJNST_ILl1ENSW_ISY_LSZ_0EJNS11_ILS12_0ELi32ELi0EEEEEEJNSS_6LambdaILl0EJNSR_IJNS0_9LambdaArgINS0_18lambda_arg_param_tELl0EEEEEEEEENST_ILl2ENSU_10sequential8seq_execEJNS17_ILl1EJNSR_IJNS18_INS0_16lambda_arg_seg_tELl0EEENS18_IS1F_Ll1EEENS18_IS1F_Ll2EEEEEES1B_EEEEEENS17_ILl2EJNSR_IJS1G_S1H_EEES1B_EEEEEEEEEEEENS0_9LoopTypesINSR_IJvvvEEES1S_EEEEEEvT0_.numbered_sgpr, 22
	.set _ZN4RAJA8internal22HipKernelLauncherFixedILi256ENS0_8LoopDataIN4camp5tupleIJNS_4SpanINS_9Iterators16numeric_iteratorIllPlEElEESA_SA_EEENS4_IJdEEENS3_9resources2v13HipEJZN8rajaperf9polybench13POLYBENCH_2MM17runHipVariantImplILm256EEEvNSG_9VariantIDEEUlRdE_ZNSJ_ILm256EEEvSK_EUllllSL_E_ZNSJ_ILm256EEEvSK_EUlllSL_E_EEENS0_24HipStatementListExecutorISP_NS3_4listIJNS_9statement3ForILl0ENS_6policy3hip11hip_indexerINS_17iteration_mapping6DirectELNS_23kernel_sync_requirementE0EJNS_3hip11IndexGlobalILNS_9named_dimE1ELi8ELi0EEEEEEJNST_ILl1ENSW_ISY_LSZ_0EJNS11_ILS12_0ELi32ELi0EEEEEEJNSS_6LambdaILl0EJNSR_IJNS0_9LambdaArgINS0_18lambda_arg_param_tELl0EEEEEEEEENST_ILl2ENSU_10sequential8seq_execEJNS17_ILl1EJNSR_IJNS18_INS0_16lambda_arg_seg_tELl0EEENS18_IS1F_Ll1EEENS18_IS1F_Ll2EEEEEES1B_EEEEEENS17_ILl2EJNSR_IJS1G_S1H_EEES1B_EEEEEEEEEEEENS0_9LoopTypesINSR_IJvvvEEES1S_EEEEEEvT0_.num_named_barrier, 0
	.set _ZN4RAJA8internal22HipKernelLauncherFixedILi256ENS0_8LoopDataIN4camp5tupleIJNS_4SpanINS_9Iterators16numeric_iteratorIllPlEElEESA_SA_EEENS4_IJdEEENS3_9resources2v13HipEJZN8rajaperf9polybench13POLYBENCH_2MM17runHipVariantImplILm256EEEvNSG_9VariantIDEEUlRdE_ZNSJ_ILm256EEEvSK_EUllllSL_E_ZNSJ_ILm256EEEvSK_EUlllSL_E_EEENS0_24HipStatementListExecutorISP_NS3_4listIJNS_9statement3ForILl0ENS_6policy3hip11hip_indexerINS_17iteration_mapping6DirectELNS_23kernel_sync_requirementE0EJNS_3hip11IndexGlobalILNS_9named_dimE1ELi8ELi0EEEEEEJNST_ILl1ENSW_ISY_LSZ_0EJNS11_ILS12_0ELi32ELi0EEEEEEJNSS_6LambdaILl0EJNSR_IJNS0_9LambdaArgINS0_18lambda_arg_param_tELl0EEEEEEEEENST_ILl2ENSU_10sequential8seq_execEJNS17_ILl1EJNSR_IJNS18_INS0_16lambda_arg_seg_tELl0EEENS18_IS1F_Ll1EEENS18_IS1F_Ll2EEEEEES1B_EEEEEENS17_ILl2EJNSR_IJS1G_S1H_EEES1B_EEEEEEEEEEEENS0_9LoopTypesINSR_IJvvvEEES1S_EEEEEEvT0_.private_seg_size, 0
	.set _ZN4RAJA8internal22HipKernelLauncherFixedILi256ENS0_8LoopDataIN4camp5tupleIJNS_4SpanINS_9Iterators16numeric_iteratorIllPlEElEESA_SA_EEENS4_IJdEEENS3_9resources2v13HipEJZN8rajaperf9polybench13POLYBENCH_2MM17runHipVariantImplILm256EEEvNSG_9VariantIDEEUlRdE_ZNSJ_ILm256EEEvSK_EUllllSL_E_ZNSJ_ILm256EEEvSK_EUlllSL_E_EEENS0_24HipStatementListExecutorISP_NS3_4listIJNS_9statement3ForILl0ENS_6policy3hip11hip_indexerINS_17iteration_mapping6DirectELNS_23kernel_sync_requirementE0EJNS_3hip11IndexGlobalILNS_9named_dimE1ELi8ELi0EEEEEEJNST_ILl1ENSW_ISY_LSZ_0EJNS11_ILS12_0ELi32ELi0EEEEEEJNSS_6LambdaILl0EJNSR_IJNS0_9LambdaArgINS0_18lambda_arg_param_tELl0EEEEEEEEENST_ILl2ENSU_10sequential8seq_execEJNS17_ILl1EJNSR_IJNS18_INS0_16lambda_arg_seg_tELl0EEENS18_IS1F_Ll1EEENS18_IS1F_Ll2EEEEEES1B_EEEEEENS17_ILl2EJNSR_IJS1G_S1H_EEES1B_EEEEEEEEEEEENS0_9LoopTypesINSR_IJvvvEEES1S_EEEEEEvT0_.uses_vcc, 1
	.set _ZN4RAJA8internal22HipKernelLauncherFixedILi256ENS0_8LoopDataIN4camp5tupleIJNS_4SpanINS_9Iterators16numeric_iteratorIllPlEElEESA_SA_EEENS4_IJdEEENS3_9resources2v13HipEJZN8rajaperf9polybench13POLYBENCH_2MM17runHipVariantImplILm256EEEvNSG_9VariantIDEEUlRdE_ZNSJ_ILm256EEEvSK_EUllllSL_E_ZNSJ_ILm256EEEvSK_EUlllSL_E_EEENS0_24HipStatementListExecutorISP_NS3_4listIJNS_9statement3ForILl0ENS_6policy3hip11hip_indexerINS_17iteration_mapping6DirectELNS_23kernel_sync_requirementE0EJNS_3hip11IndexGlobalILNS_9named_dimE1ELi8ELi0EEEEEEJNST_ILl1ENSW_ISY_LSZ_0EJNS11_ILS12_0ELi32ELi0EEEEEEJNSS_6LambdaILl0EJNSR_IJNS0_9LambdaArgINS0_18lambda_arg_param_tELl0EEEEEEEEENST_ILl2ENSU_10sequential8seq_execEJNS17_ILl1EJNSR_IJNS18_INS0_16lambda_arg_seg_tELl0EEENS18_IS1F_Ll1EEENS18_IS1F_Ll2EEEEEES1B_EEEEEENS17_ILl2EJNSR_IJS1G_S1H_EEES1B_EEEEEEEEEEEENS0_9LoopTypesINSR_IJvvvEEES1S_EEEEEEvT0_.uses_flat_scratch, 0
	.set _ZN4RAJA8internal22HipKernelLauncherFixedILi256ENS0_8LoopDataIN4camp5tupleIJNS_4SpanINS_9Iterators16numeric_iteratorIllPlEElEESA_SA_EEENS4_IJdEEENS3_9resources2v13HipEJZN8rajaperf9polybench13POLYBENCH_2MM17runHipVariantImplILm256EEEvNSG_9VariantIDEEUlRdE_ZNSJ_ILm256EEEvSK_EUllllSL_E_ZNSJ_ILm256EEEvSK_EUlllSL_E_EEENS0_24HipStatementListExecutorISP_NS3_4listIJNS_9statement3ForILl0ENS_6policy3hip11hip_indexerINS_17iteration_mapping6DirectELNS_23kernel_sync_requirementE0EJNS_3hip11IndexGlobalILNS_9named_dimE1ELi8ELi0EEEEEEJNST_ILl1ENSW_ISY_LSZ_0EJNS11_ILS12_0ELi32ELi0EEEEEEJNSS_6LambdaILl0EJNSR_IJNS0_9LambdaArgINS0_18lambda_arg_param_tELl0EEEEEEEEENST_ILl2ENSU_10sequential8seq_execEJNS17_ILl1EJNSR_IJNS18_INS0_16lambda_arg_seg_tELl0EEENS18_IS1F_Ll1EEENS18_IS1F_Ll2EEEEEES1B_EEEEEENS17_ILl2EJNSR_IJS1G_S1H_EEES1B_EEEEEEEEEEEENS0_9LoopTypesINSR_IJvvvEEES1S_EEEEEEvT0_.has_dyn_sized_stack, 0
	.set _ZN4RAJA8internal22HipKernelLauncherFixedILi256ENS0_8LoopDataIN4camp5tupleIJNS_4SpanINS_9Iterators16numeric_iteratorIllPlEElEESA_SA_EEENS4_IJdEEENS3_9resources2v13HipEJZN8rajaperf9polybench13POLYBENCH_2MM17runHipVariantImplILm256EEEvNSG_9VariantIDEEUlRdE_ZNSJ_ILm256EEEvSK_EUllllSL_E_ZNSJ_ILm256EEEvSK_EUlllSL_E_EEENS0_24HipStatementListExecutorISP_NS3_4listIJNS_9statement3ForILl0ENS_6policy3hip11hip_indexerINS_17iteration_mapping6DirectELNS_23kernel_sync_requirementE0EJNS_3hip11IndexGlobalILNS_9named_dimE1ELi8ELi0EEEEEEJNST_ILl1ENSW_ISY_LSZ_0EJNS11_ILS12_0ELi32ELi0EEEEEEJNSS_6LambdaILl0EJNSR_IJNS0_9LambdaArgINS0_18lambda_arg_param_tELl0EEEEEEEEENST_ILl2ENSU_10sequential8seq_execEJNS17_ILl1EJNSR_IJNS18_INS0_16lambda_arg_seg_tELl0EEENS18_IS1F_Ll1EEENS18_IS1F_Ll2EEEEEES1B_EEEEEENS17_ILl2EJNSR_IJS1G_S1H_EEES1B_EEEEEEEEEEEENS0_9LoopTypesINSR_IJvvvEEES1S_EEEEEEvT0_.has_recursion, 0
	.set _ZN4RAJA8internal22HipKernelLauncherFixedILi256ENS0_8LoopDataIN4camp5tupleIJNS_4SpanINS_9Iterators16numeric_iteratorIllPlEElEESA_SA_EEENS4_IJdEEENS3_9resources2v13HipEJZN8rajaperf9polybench13POLYBENCH_2MM17runHipVariantImplILm256EEEvNSG_9VariantIDEEUlRdE_ZNSJ_ILm256EEEvSK_EUllllSL_E_ZNSJ_ILm256EEEvSK_EUlllSL_E_EEENS0_24HipStatementListExecutorISP_NS3_4listIJNS_9statement3ForILl0ENS_6policy3hip11hip_indexerINS_17iteration_mapping6DirectELNS_23kernel_sync_requirementE0EJNS_3hip11IndexGlobalILNS_9named_dimE1ELi8ELi0EEEEEEJNST_ILl1ENSW_ISY_LSZ_0EJNS11_ILS12_0ELi32ELi0EEEEEEJNSS_6LambdaILl0EJNSR_IJNS0_9LambdaArgINS0_18lambda_arg_param_tELl0EEEEEEEEENST_ILl2ENSU_10sequential8seq_execEJNS17_ILl1EJNSR_IJNS18_INS0_16lambda_arg_seg_tELl0EEENS18_IS1F_Ll1EEENS18_IS1F_Ll2EEEEEES1B_EEEEEENS17_ILl2EJNSR_IJS1G_S1H_EEES1B_EEEEEEEEEEEENS0_9LoopTypesINSR_IJvvvEEES1S_EEEEEEvT0_.has_indirect_call, 0
	.section	.AMDGPU.csdata,"",@progbits
; Kernel info:
; codeLenInByte = 508
; TotalNumSgprs: 24
; NumVgprs: 14
; ScratchSize: 0
; MemoryBound: 1
; FloatMode: 240
; IeeeMode: 1
; LDSByteSize: 0 bytes/workgroup (compile time only)
; SGPRBlocks: 0
; VGPRBlocks: 0
; NumSGPRsForWavesPerEU: 24
; NumVGPRsForWavesPerEU: 14
; NamedBarCnt: 0
; Occupancy: 16
; WaveLimiterHint : 1
; COMPUTE_PGM_RSRC2:SCRATCH_EN: 0
; COMPUTE_PGM_RSRC2:USER_SGPR: 2
; COMPUTE_PGM_RSRC2:TRAP_HANDLER: 0
; COMPUTE_PGM_RSRC2:TGID_X_EN: 1
; COMPUTE_PGM_RSRC2:TGID_Y_EN: 1
; COMPUTE_PGM_RSRC2:TGID_Z_EN: 0
; COMPUTE_PGM_RSRC2:TIDIG_COMP_CNT: 1
	.section	.text._ZN4RAJA8internal22HipKernelLauncherFixedILi256ENS0_8LoopDataIN4camp5tupleIJNS_4SpanINS_9Iterators16numeric_iteratorIllPlEElEESA_SA_EEENS4_IJdEEENS3_9resources2v13HipEJZN8rajaperf9polybench13POLYBENCH_2MM17runHipVariantImplILm256EEEvNSG_9VariantIDEEUlRdE0_ZNSJ_ILm256EEEvSK_EUllllSL_E0_ZNSJ_ILm256EEEvSK_EUlllSL_E0_EEENS0_24HipStatementListExecutorISP_NS3_4listIJNS_9statement3ForILl0ENS_6policy3hip11hip_indexerINS_17iteration_mapping6DirectELNS_23kernel_sync_requirementE0EJNS_3hip11IndexGlobalILNS_9named_dimE1ELi8ELi0EEEEEEJNST_ILl1ENSW_ISY_LSZ_0EJNS11_ILS12_0ELi32ELi0EEEEEEJNSS_6LambdaILl0EJNSR_IJNS0_9LambdaArgINS0_18lambda_arg_param_tELl0EEEEEEEEENST_ILl2ENSU_10sequential8seq_execEJNS17_ILl1EJNSR_IJNS18_INS0_16lambda_arg_seg_tELl0EEENS18_IS1F_Ll1EEENS18_IS1F_Ll2EEEEEES1B_EEEEEENS17_ILl2EJNSR_IJS1G_S1H_EEES1B_EEEEEEEEEEEENS0_9LoopTypesINSR_IJvvvEEES1S_EEEEEEvT0_,"axG",@progbits,_ZN4RAJA8internal22HipKernelLauncherFixedILi256ENS0_8LoopDataIN4camp5tupleIJNS_4SpanINS_9Iterators16numeric_iteratorIllPlEElEESA_SA_EEENS4_IJdEEENS3_9resources2v13HipEJZN8rajaperf9polybench13POLYBENCH_2MM17runHipVariantImplILm256EEEvNSG_9VariantIDEEUlRdE0_ZNSJ_ILm256EEEvSK_EUllllSL_E0_ZNSJ_ILm256EEEvSK_EUlllSL_E0_EEENS0_24HipStatementListExecutorISP_NS3_4listIJNS_9statement3ForILl0ENS_6policy3hip11hip_indexerINS_17iteration_mapping6DirectELNS_23kernel_sync_requirementE0EJNS_3hip11IndexGlobalILNS_9named_dimE1ELi8ELi0EEEEEEJNST_ILl1ENSW_ISY_LSZ_0EJNS11_ILS12_0ELi32ELi0EEEEEEJNSS_6LambdaILl0EJNSR_IJNS0_9LambdaArgINS0_18lambda_arg_param_tELl0EEEEEEEEENST_ILl2ENSU_10sequential8seq_execEJNS17_ILl1EJNSR_IJNS18_INS0_16lambda_arg_seg_tELl0EEENS18_IS1F_Ll1EEENS18_IS1F_Ll2EEEEEES1B_EEEEEENS17_ILl2EJNSR_IJS1G_S1H_EEES1B_EEEEEEEEEEEENS0_9LoopTypesINSR_IJvvvEEES1S_EEEEEEvT0_,comdat
	.protected	_ZN4RAJA8internal22HipKernelLauncherFixedILi256ENS0_8LoopDataIN4camp5tupleIJNS_4SpanINS_9Iterators16numeric_iteratorIllPlEElEESA_SA_EEENS4_IJdEEENS3_9resources2v13HipEJZN8rajaperf9polybench13POLYBENCH_2MM17runHipVariantImplILm256EEEvNSG_9VariantIDEEUlRdE0_ZNSJ_ILm256EEEvSK_EUllllSL_E0_ZNSJ_ILm256EEEvSK_EUlllSL_E0_EEENS0_24HipStatementListExecutorISP_NS3_4listIJNS_9statement3ForILl0ENS_6policy3hip11hip_indexerINS_17iteration_mapping6DirectELNS_23kernel_sync_requirementE0EJNS_3hip11IndexGlobalILNS_9named_dimE1ELi8ELi0EEEEEEJNST_ILl1ENSW_ISY_LSZ_0EJNS11_ILS12_0ELi32ELi0EEEEEEJNSS_6LambdaILl0EJNSR_IJNS0_9LambdaArgINS0_18lambda_arg_param_tELl0EEEEEEEEENST_ILl2ENSU_10sequential8seq_execEJNS17_ILl1EJNSR_IJNS18_INS0_16lambda_arg_seg_tELl0EEENS18_IS1F_Ll1EEENS18_IS1F_Ll2EEEEEES1B_EEEEEENS17_ILl2EJNSR_IJS1G_S1H_EEES1B_EEEEEEEEEEEENS0_9LoopTypesINSR_IJvvvEEES1S_EEEEEEvT0_ ; -- Begin function _ZN4RAJA8internal22HipKernelLauncherFixedILi256ENS0_8LoopDataIN4camp5tupleIJNS_4SpanINS_9Iterators16numeric_iteratorIllPlEElEESA_SA_EEENS4_IJdEEENS3_9resources2v13HipEJZN8rajaperf9polybench13POLYBENCH_2MM17runHipVariantImplILm256EEEvNSG_9VariantIDEEUlRdE0_ZNSJ_ILm256EEEvSK_EUllllSL_E0_ZNSJ_ILm256EEEvSK_EUlllSL_E0_EEENS0_24HipStatementListExecutorISP_NS3_4listIJNS_9statement3ForILl0ENS_6policy3hip11hip_indexerINS_17iteration_mapping6DirectELNS_23kernel_sync_requirementE0EJNS_3hip11IndexGlobalILNS_9named_dimE1ELi8ELi0EEEEEEJNST_ILl1ENSW_ISY_LSZ_0EJNS11_ILS12_0ELi32ELi0EEEEEEJNSS_6LambdaILl0EJNSR_IJNS0_9LambdaArgINS0_18lambda_arg_param_tELl0EEEEEEEEENST_ILl2ENSU_10sequential8seq_execEJNS17_ILl1EJNSR_IJNS18_INS0_16lambda_arg_seg_tELl0EEENS18_IS1F_Ll1EEENS18_IS1F_Ll2EEEEEES1B_EEEEEENS17_ILl2EJNSR_IJS1G_S1H_EEES1B_EEEEEEEEEEEENS0_9LoopTypesINSR_IJvvvEEES1S_EEEEEEvT0_
	.globl	_ZN4RAJA8internal22HipKernelLauncherFixedILi256ENS0_8LoopDataIN4camp5tupleIJNS_4SpanINS_9Iterators16numeric_iteratorIllPlEElEESA_SA_EEENS4_IJdEEENS3_9resources2v13HipEJZN8rajaperf9polybench13POLYBENCH_2MM17runHipVariantImplILm256EEEvNSG_9VariantIDEEUlRdE0_ZNSJ_ILm256EEEvSK_EUllllSL_E0_ZNSJ_ILm256EEEvSK_EUlllSL_E0_EEENS0_24HipStatementListExecutorISP_NS3_4listIJNS_9statement3ForILl0ENS_6policy3hip11hip_indexerINS_17iteration_mapping6DirectELNS_23kernel_sync_requirementE0EJNS_3hip11IndexGlobalILNS_9named_dimE1ELi8ELi0EEEEEEJNST_ILl1ENSW_ISY_LSZ_0EJNS11_ILS12_0ELi32ELi0EEEEEEJNSS_6LambdaILl0EJNSR_IJNS0_9LambdaArgINS0_18lambda_arg_param_tELl0EEEEEEEEENST_ILl2ENSU_10sequential8seq_execEJNS17_ILl1EJNSR_IJNS18_INS0_16lambda_arg_seg_tELl0EEENS18_IS1F_Ll1EEENS18_IS1F_Ll2EEEEEES1B_EEEEEENS17_ILl2EJNSR_IJS1G_S1H_EEES1B_EEEEEEEEEEEENS0_9LoopTypesINSR_IJvvvEEES1S_EEEEEEvT0_
	.p2align	8
	.type	_ZN4RAJA8internal22HipKernelLauncherFixedILi256ENS0_8LoopDataIN4camp5tupleIJNS_4SpanINS_9Iterators16numeric_iteratorIllPlEElEESA_SA_EEENS4_IJdEEENS3_9resources2v13HipEJZN8rajaperf9polybench13POLYBENCH_2MM17runHipVariantImplILm256EEEvNSG_9VariantIDEEUlRdE0_ZNSJ_ILm256EEEvSK_EUllllSL_E0_ZNSJ_ILm256EEEvSK_EUlllSL_E0_EEENS0_24HipStatementListExecutorISP_NS3_4listIJNS_9statement3ForILl0ENS_6policy3hip11hip_indexerINS_17iteration_mapping6DirectELNS_23kernel_sync_requirementE0EJNS_3hip11IndexGlobalILNS_9named_dimE1ELi8ELi0EEEEEEJNST_ILl1ENSW_ISY_LSZ_0EJNS11_ILS12_0ELi32ELi0EEEEEEJNSS_6LambdaILl0EJNSR_IJNS0_9LambdaArgINS0_18lambda_arg_param_tELl0EEEEEEEEENST_ILl2ENSU_10sequential8seq_execEJNS17_ILl1EJNSR_IJNS18_INS0_16lambda_arg_seg_tELl0EEENS18_IS1F_Ll1EEENS18_IS1F_Ll2EEEEEES1B_EEEEEENS17_ILl2EJNSR_IJS1G_S1H_EEES1B_EEEEEEEEEEEENS0_9LoopTypesINSR_IJvvvEEES1S_EEEEEEvT0_,@function
_ZN4RAJA8internal22HipKernelLauncherFixedILi256ENS0_8LoopDataIN4camp5tupleIJNS_4SpanINS_9Iterators16numeric_iteratorIllPlEElEESA_SA_EEENS4_IJdEEENS3_9resources2v13HipEJZN8rajaperf9polybench13POLYBENCH_2MM17runHipVariantImplILm256EEEvNSG_9VariantIDEEUlRdE0_ZNSJ_ILm256EEEvSK_EUllllSL_E0_ZNSJ_ILm256EEEvSK_EUlllSL_E0_EEENS0_24HipStatementListExecutorISP_NS3_4listIJNS_9statement3ForILl0ENS_6policy3hip11hip_indexerINS_17iteration_mapping6DirectELNS_23kernel_sync_requirementE0EJNS_3hip11IndexGlobalILNS_9named_dimE1ELi8ELi0EEEEEEJNST_ILl1ENSW_ISY_LSZ_0EJNS11_ILS12_0ELi32ELi0EEEEEEJNSS_6LambdaILl0EJNSR_IJNS0_9LambdaArgINS0_18lambda_arg_param_tELl0EEEEEEEEENST_ILl2ENSU_10sequential8seq_execEJNS17_ILl1EJNSR_IJNS18_INS0_16lambda_arg_seg_tELl0EEENS18_IS1F_Ll1EEENS18_IS1F_Ll2EEEEEES1B_EEEEEENS17_ILl2EJNSR_IJS1G_S1H_EEES1B_EEEEEEEEEEEENS0_9LoopTypesINSR_IJvvvEEES1S_EEEEEEvT0_: ; @_ZN4RAJA8internal22HipKernelLauncherFixedILi256ENS0_8LoopDataIN4camp5tupleIJNS_4SpanINS_9Iterators16numeric_iteratorIllPlEElEESA_SA_EEENS4_IJdEEENS3_9resources2v13HipEJZN8rajaperf9polybench13POLYBENCH_2MM17runHipVariantImplILm256EEEvNSG_9VariantIDEEUlRdE0_ZNSJ_ILm256EEEvSK_EUllllSL_E0_ZNSJ_ILm256EEEvSK_EUlllSL_E0_EEENS0_24HipStatementListExecutorISP_NS3_4listIJNS_9statement3ForILl0ENS_6policy3hip11hip_indexerINS_17iteration_mapping6DirectELNS_23kernel_sync_requirementE0EJNS_3hip11IndexGlobalILNS_9named_dimE1ELi8ELi0EEEEEEJNST_ILl1ENSW_ISY_LSZ_0EJNS11_ILS12_0ELi32ELi0EEEEEEJNSS_6LambdaILl0EJNSR_IJNS0_9LambdaArgINS0_18lambda_arg_param_tELl0EEEEEEEEENST_ILl2ENSU_10sequential8seq_execEJNS17_ILl1EJNSR_IJNS18_INS0_16lambda_arg_seg_tELl0EEENS18_IS1F_Ll1EEENS18_IS1F_Ll2EEEEEES1B_EEEEEENS17_ILl2EJNSR_IJS1G_S1H_EEES1B_EEEEEEEEEEEENS0_9LoopTypesINSR_IJvvvEEES1S_EEEEEEvT0_
; %bb.0:
	s_clause 0x2
	s_load_b256 s[4:11], s[0:1], 0x0
	s_load_b128 s[12:15], s[0:1], 0x20
	s_load_b64 s[18:19], s[0:1], 0x48
	s_bfe_u32 s2, ttmp6, 0x4000c
	s_bfe_u32 s16, ttmp6, 0x40010
	s_add_co_i32 s2, s2, 1
	s_and_b32 s3, ttmp6, 15
	s_mul_i32 s2, ttmp9, s2
	s_add_co_i32 s16, s16, 1
	s_add_co_i32 s3, s3, s2
	s_mul_i32 s2, ttmp7, s16
	s_bfe_u32 s16, ttmp6, 0x40004
	s_getreg_b32 s17, hwreg(HW_REG_IB_STS2, 6, 4)
	v_bfe_u32 v6, v0, 10, 10
	v_mov_b32_e32 v7, 0
	s_add_co_i32 s16, s16, s2
	s_cmp_eq_u32 s17, 0
	s_mov_b32 s17, 0
	s_cselect_b32 s16, ttmp7, s16
	s_load_b64 s[20:21], s[0:1], 0x30
	s_wait_kmcnt 0x0
	v_mov_b32_e32 v2, s19
	v_lshl_add_u64 v[4:5], s[16:17], 3, v[6:7]
	v_and_b32_e32 v6, 0x3ff, v0
	s_cselect_b32 s16, ttmp9, s3
	v_mov_b32_e32 v8, s18
	s_lshl_b64 s[2:3], s[16:17], 5
	s_delay_alu instid0(VALU_DEP_2) | instid1(SALU_CYCLE_1)
	v_add_nc_u64_e32 v[0:1], s[2:3], v[6:7]
	s_sub_nc_u64 s[2:3], s[6:7], s[4:5]
	s_sub_nc_u64 s[6:7], s[10:11], s[8:9]
	v_cmp_gt_i64_e32 vcc_lo, s[2:3], v[4:5]
	v_add_nc_u64_e32 v[4:5], s[4:5], v[4:5]
	s_delay_alu instid0(VALU_DEP_3) | instskip(SKIP_1) | instid1(SALU_CYCLE_1)
	v_cmp_gt_i64_e64 s2, s[6:7], v[0:1]
	s_sub_nc_u64 s[6:7], s[14:15], s[12:13]
	v_cmp_lt_i64_e64 s3, s[6:7], 1
	s_and_b32 s2, vcc_lo, s2
	s_delay_alu instid0(SALU_CYCLE_1)
	v_cndmask_b32_e64 v3, s21, v2, s2
	v_cndmask_b32_e64 v2, s20, v8, s2
	s_and_b32 vcc_lo, exec_lo, s3
	s_cbranch_vccnz .LBB5_5
; %bb.1:
	s_clause 0x1
	s_load_b64 s[4:5], s[0:1], 0x68
	s_load_b64 s[10:11], s[0:1], 0xb0
	s_lshl_b64 s[16:17], s[16:17], 8
	v_lshlrev_b32_e32 v6, 3, v6
	s_wait_kmcnt 0x0
	v_mul_u64_e32 v[8:9], s[4:5], v[4:5]
	s_clause 0x1
	s_load_b64 s[4:5], s[0:1], 0x98
	s_load_b64 s[14:15], s[0:1], 0x50
	s_mul_u64 s[18:19], s[12:13], s[10:11]
	s_lshl_b64 s[12:13], s[12:13], 3
	s_lshl_b64 s[18:19], s[18:19], 3
	s_delay_alu instid0(SALU_CYCLE_1) | instskip(SKIP_1) | instid1(SALU_CYCLE_1)
	s_add_nc_u64 s[16:17], s[18:19], s[16:17]
	s_lshl_b64 s[18:19], s[8:9], 3
	s_add_nc_u64 s[16:17], s[16:17], s[18:19]
	s_wait_kmcnt 0x0
	s_add_nc_u64 s[4:5], s[4:5], s[16:17]
	s_add_nc_u64 s[12:13], s[14:15], s[12:13]
	v_add_nc_u64_e32 v[6:7], s[4:5], v[6:7]
	s_lshl_b64 s[4:5], s[10:11], 3
	s_mov_b64 s[10:11], 0
	s_delay_alu instid0(VALU_DEP_2)
	v_lshl_add_u64 v[8:9], v[8:9], 3, s[12:13]
	s_branch .LBB5_3
.LBB5_2:                                ;   in Loop: Header=BB5_3 Depth=1
	s_or_b32 exec_lo, exec_lo, s3
	s_add_nc_u64 s[10:11], s[10:11], 1
	v_add_nc_u64_e32 v[8:9], 8, v[8:9]
	v_cmp_lt_i64_e64 s3, s[10:11], s[6:7]
	v_add_nc_u64_e32 v[6:7], s[4:5], v[6:7]
	s_and_b32 vcc_lo, exec_lo, s3
	s_cbranch_vccz .LBB5_5
.LBB5_3:                                ; =>This Inner Loop Header: Depth=1
	s_and_saveexec_b32 s3, s2
	s_cbranch_execz .LBB5_2
; %bb.4:                                ;   in Loop: Header=BB5_3 Depth=1
	global_load_b64 v[10:11], v[8:9], off
	global_load_b64 v[12:13], v[6:7], off
	s_wait_loadcnt 0x0
	v_fmac_f64_e32 v[2:3], v[10:11], v[12:13]
	s_branch .LBB5_2
.LBB5_5:
	s_clause 0x1
	s_load_b64 s[4:5], s[0:1], 0xe0
	s_load_b64 s[6:7], s[0:1], 0xf8
	s_wait_xcnt 0x0
	s_and_saveexec_b32 s0, s2
	s_cbranch_execz .LBB5_7
; %bb.6:
	s_wait_kmcnt 0x0
	v_mul_u64_e32 v[4:5], s[6:7], v[4:5]
	v_lshl_add_u64 v[0:1], v[0:1], 3, s[4:5]
	s_delay_alu instid0(VALU_DEP_1) | instskip(NEXT) | instid1(VALU_DEP_1)
	v_lshl_add_u64 v[0:1], s[8:9], 3, v[0:1]
	v_lshl_add_u64 v[0:1], v[4:5], 3, v[0:1]
	global_store_b64 v[0:1], v[2:3], off
.LBB5_7:
	s_endpgm
	.section	.rodata,"a",@progbits
	.p2align	6, 0x0
	.amdhsa_kernel _ZN4RAJA8internal22HipKernelLauncherFixedILi256ENS0_8LoopDataIN4camp5tupleIJNS_4SpanINS_9Iterators16numeric_iteratorIllPlEElEESA_SA_EEENS4_IJdEEENS3_9resources2v13HipEJZN8rajaperf9polybench13POLYBENCH_2MM17runHipVariantImplILm256EEEvNSG_9VariantIDEEUlRdE0_ZNSJ_ILm256EEEvSK_EUllllSL_E0_ZNSJ_ILm256EEEvSK_EUlllSL_E0_EEENS0_24HipStatementListExecutorISP_NS3_4listIJNS_9statement3ForILl0ENS_6policy3hip11hip_indexerINS_17iteration_mapping6DirectELNS_23kernel_sync_requirementE0EJNS_3hip11IndexGlobalILNS_9named_dimE1ELi8ELi0EEEEEEJNST_ILl1ENSW_ISY_LSZ_0EJNS11_ILS12_0ELi32ELi0EEEEEEJNSS_6LambdaILl0EJNSR_IJNS0_9LambdaArgINS0_18lambda_arg_param_tELl0EEEEEEEEENST_ILl2ENSU_10sequential8seq_execEJNS17_ILl1EJNSR_IJNS18_INS0_16lambda_arg_seg_tELl0EEENS18_IS1F_Ll1EEENS18_IS1F_Ll2EEEEEES1B_EEEEEENS17_ILl2EJNSR_IJS1G_S1H_EEES1B_EEEEEEEEEEEENS0_9LoopTypesINSR_IJvvvEEES1S_EEEEEEvT0_
		.amdhsa_group_segment_fixed_size 0
		.amdhsa_private_segment_fixed_size 0
		.amdhsa_kernarg_size 336
		.amdhsa_user_sgpr_count 2
		.amdhsa_user_sgpr_dispatch_ptr 0
		.amdhsa_user_sgpr_queue_ptr 0
		.amdhsa_user_sgpr_kernarg_segment_ptr 1
		.amdhsa_user_sgpr_dispatch_id 0
		.amdhsa_user_sgpr_kernarg_preload_length 0
		.amdhsa_user_sgpr_kernarg_preload_offset 0
		.amdhsa_user_sgpr_private_segment_size 0
		.amdhsa_wavefront_size32 1
		.amdhsa_uses_dynamic_stack 0
		.amdhsa_enable_private_segment 0
		.amdhsa_system_sgpr_workgroup_id_x 1
		.amdhsa_system_sgpr_workgroup_id_y 1
		.amdhsa_system_sgpr_workgroup_id_z 0
		.amdhsa_system_sgpr_workgroup_info 0
		.amdhsa_system_vgpr_workitem_id 1
		.amdhsa_next_free_vgpr 14
		.amdhsa_next_free_sgpr 22
		.amdhsa_named_barrier_count 0
		.amdhsa_reserve_vcc 1
		.amdhsa_float_round_mode_32 0
		.amdhsa_float_round_mode_16_64 0
		.amdhsa_float_denorm_mode_32 3
		.amdhsa_float_denorm_mode_16_64 3
		.amdhsa_fp16_overflow 0
		.amdhsa_memory_ordered 1
		.amdhsa_forward_progress 1
		.amdhsa_inst_pref_size 5
		.amdhsa_round_robin_scheduling 0
		.amdhsa_exception_fp_ieee_invalid_op 0
		.amdhsa_exception_fp_denorm_src 0
		.amdhsa_exception_fp_ieee_div_zero 0
		.amdhsa_exception_fp_ieee_overflow 0
		.amdhsa_exception_fp_ieee_underflow 0
		.amdhsa_exception_fp_ieee_inexact 0
		.amdhsa_exception_int_div_zero 0
	.end_amdhsa_kernel
	.section	.text._ZN4RAJA8internal22HipKernelLauncherFixedILi256ENS0_8LoopDataIN4camp5tupleIJNS_4SpanINS_9Iterators16numeric_iteratorIllPlEElEESA_SA_EEENS4_IJdEEENS3_9resources2v13HipEJZN8rajaperf9polybench13POLYBENCH_2MM17runHipVariantImplILm256EEEvNSG_9VariantIDEEUlRdE0_ZNSJ_ILm256EEEvSK_EUllllSL_E0_ZNSJ_ILm256EEEvSK_EUlllSL_E0_EEENS0_24HipStatementListExecutorISP_NS3_4listIJNS_9statement3ForILl0ENS_6policy3hip11hip_indexerINS_17iteration_mapping6DirectELNS_23kernel_sync_requirementE0EJNS_3hip11IndexGlobalILNS_9named_dimE1ELi8ELi0EEEEEEJNST_ILl1ENSW_ISY_LSZ_0EJNS11_ILS12_0ELi32ELi0EEEEEEJNSS_6LambdaILl0EJNSR_IJNS0_9LambdaArgINS0_18lambda_arg_param_tELl0EEEEEEEEENST_ILl2ENSU_10sequential8seq_execEJNS17_ILl1EJNSR_IJNS18_INS0_16lambda_arg_seg_tELl0EEENS18_IS1F_Ll1EEENS18_IS1F_Ll2EEEEEES1B_EEEEEENS17_ILl2EJNSR_IJS1G_S1H_EEES1B_EEEEEEEEEEEENS0_9LoopTypesINSR_IJvvvEEES1S_EEEEEEvT0_,"axG",@progbits,_ZN4RAJA8internal22HipKernelLauncherFixedILi256ENS0_8LoopDataIN4camp5tupleIJNS_4SpanINS_9Iterators16numeric_iteratorIllPlEElEESA_SA_EEENS4_IJdEEENS3_9resources2v13HipEJZN8rajaperf9polybench13POLYBENCH_2MM17runHipVariantImplILm256EEEvNSG_9VariantIDEEUlRdE0_ZNSJ_ILm256EEEvSK_EUllllSL_E0_ZNSJ_ILm256EEEvSK_EUlllSL_E0_EEENS0_24HipStatementListExecutorISP_NS3_4listIJNS_9statement3ForILl0ENS_6policy3hip11hip_indexerINS_17iteration_mapping6DirectELNS_23kernel_sync_requirementE0EJNS_3hip11IndexGlobalILNS_9named_dimE1ELi8ELi0EEEEEEJNST_ILl1ENSW_ISY_LSZ_0EJNS11_ILS12_0ELi32ELi0EEEEEEJNSS_6LambdaILl0EJNSR_IJNS0_9LambdaArgINS0_18lambda_arg_param_tELl0EEEEEEEEENST_ILl2ENSU_10sequential8seq_execEJNS17_ILl1EJNSR_IJNS18_INS0_16lambda_arg_seg_tELl0EEENS18_IS1F_Ll1EEENS18_IS1F_Ll2EEEEEES1B_EEEEEENS17_ILl2EJNSR_IJS1G_S1H_EEES1B_EEEEEEEEEEEENS0_9LoopTypesINSR_IJvvvEEES1S_EEEEEEvT0_,comdat
.Lfunc_end5:
	.size	_ZN4RAJA8internal22HipKernelLauncherFixedILi256ENS0_8LoopDataIN4camp5tupleIJNS_4SpanINS_9Iterators16numeric_iteratorIllPlEElEESA_SA_EEENS4_IJdEEENS3_9resources2v13HipEJZN8rajaperf9polybench13POLYBENCH_2MM17runHipVariantImplILm256EEEvNSG_9VariantIDEEUlRdE0_ZNSJ_ILm256EEEvSK_EUllllSL_E0_ZNSJ_ILm256EEEvSK_EUlllSL_E0_EEENS0_24HipStatementListExecutorISP_NS3_4listIJNS_9statement3ForILl0ENS_6policy3hip11hip_indexerINS_17iteration_mapping6DirectELNS_23kernel_sync_requirementE0EJNS_3hip11IndexGlobalILNS_9named_dimE1ELi8ELi0EEEEEEJNST_ILl1ENSW_ISY_LSZ_0EJNS11_ILS12_0ELi32ELi0EEEEEEJNSS_6LambdaILl0EJNSR_IJNS0_9LambdaArgINS0_18lambda_arg_param_tELl0EEEEEEEEENST_ILl2ENSU_10sequential8seq_execEJNS17_ILl1EJNSR_IJNS18_INS0_16lambda_arg_seg_tELl0EEENS18_IS1F_Ll1EEENS18_IS1F_Ll2EEEEEES1B_EEEEEENS17_ILl2EJNSR_IJS1G_S1H_EEES1B_EEEEEEEEEEEENS0_9LoopTypesINSR_IJvvvEEES1S_EEEEEEvT0_, .Lfunc_end5-_ZN4RAJA8internal22HipKernelLauncherFixedILi256ENS0_8LoopDataIN4camp5tupleIJNS_4SpanINS_9Iterators16numeric_iteratorIllPlEElEESA_SA_EEENS4_IJdEEENS3_9resources2v13HipEJZN8rajaperf9polybench13POLYBENCH_2MM17runHipVariantImplILm256EEEvNSG_9VariantIDEEUlRdE0_ZNSJ_ILm256EEEvSK_EUllllSL_E0_ZNSJ_ILm256EEEvSK_EUlllSL_E0_EEENS0_24HipStatementListExecutorISP_NS3_4listIJNS_9statement3ForILl0ENS_6policy3hip11hip_indexerINS_17iteration_mapping6DirectELNS_23kernel_sync_requirementE0EJNS_3hip11IndexGlobalILNS_9named_dimE1ELi8ELi0EEEEEEJNST_ILl1ENSW_ISY_LSZ_0EJNS11_ILS12_0ELi32ELi0EEEEEEJNSS_6LambdaILl0EJNSR_IJNS0_9LambdaArgINS0_18lambda_arg_param_tELl0EEEEEEEEENST_ILl2ENSU_10sequential8seq_execEJNS17_ILl1EJNSR_IJNS18_INS0_16lambda_arg_seg_tELl0EEENS18_IS1F_Ll1EEENS18_IS1F_Ll2EEEEEES1B_EEEEEENS17_ILl2EJNSR_IJS1G_S1H_EEES1B_EEEEEEEEEEEENS0_9LoopTypesINSR_IJvvvEEES1S_EEEEEEvT0_
                                        ; -- End function
	.set _ZN4RAJA8internal22HipKernelLauncherFixedILi256ENS0_8LoopDataIN4camp5tupleIJNS_4SpanINS_9Iterators16numeric_iteratorIllPlEElEESA_SA_EEENS4_IJdEEENS3_9resources2v13HipEJZN8rajaperf9polybench13POLYBENCH_2MM17runHipVariantImplILm256EEEvNSG_9VariantIDEEUlRdE0_ZNSJ_ILm256EEEvSK_EUllllSL_E0_ZNSJ_ILm256EEEvSK_EUlllSL_E0_EEENS0_24HipStatementListExecutorISP_NS3_4listIJNS_9statement3ForILl0ENS_6policy3hip11hip_indexerINS_17iteration_mapping6DirectELNS_23kernel_sync_requirementE0EJNS_3hip11IndexGlobalILNS_9named_dimE1ELi8ELi0EEEEEEJNST_ILl1ENSW_ISY_LSZ_0EJNS11_ILS12_0ELi32ELi0EEEEEEJNSS_6LambdaILl0EJNSR_IJNS0_9LambdaArgINS0_18lambda_arg_param_tELl0EEEEEEEEENST_ILl2ENSU_10sequential8seq_execEJNS17_ILl1EJNSR_IJNS18_INS0_16lambda_arg_seg_tELl0EEENS18_IS1F_Ll1EEENS18_IS1F_Ll2EEEEEES1B_EEEEEENS17_ILl2EJNSR_IJS1G_S1H_EEES1B_EEEEEEEEEEEENS0_9LoopTypesINSR_IJvvvEEES1S_EEEEEEvT0_.num_vgpr, 14
	.set _ZN4RAJA8internal22HipKernelLauncherFixedILi256ENS0_8LoopDataIN4camp5tupleIJNS_4SpanINS_9Iterators16numeric_iteratorIllPlEElEESA_SA_EEENS4_IJdEEENS3_9resources2v13HipEJZN8rajaperf9polybench13POLYBENCH_2MM17runHipVariantImplILm256EEEvNSG_9VariantIDEEUlRdE0_ZNSJ_ILm256EEEvSK_EUllllSL_E0_ZNSJ_ILm256EEEvSK_EUlllSL_E0_EEENS0_24HipStatementListExecutorISP_NS3_4listIJNS_9statement3ForILl0ENS_6policy3hip11hip_indexerINS_17iteration_mapping6DirectELNS_23kernel_sync_requirementE0EJNS_3hip11IndexGlobalILNS_9named_dimE1ELi8ELi0EEEEEEJNST_ILl1ENSW_ISY_LSZ_0EJNS11_ILS12_0ELi32ELi0EEEEEEJNSS_6LambdaILl0EJNSR_IJNS0_9LambdaArgINS0_18lambda_arg_param_tELl0EEEEEEEEENST_ILl2ENSU_10sequential8seq_execEJNS17_ILl1EJNSR_IJNS18_INS0_16lambda_arg_seg_tELl0EEENS18_IS1F_Ll1EEENS18_IS1F_Ll2EEEEEES1B_EEEEEENS17_ILl2EJNSR_IJS1G_S1H_EEES1B_EEEEEEEEEEEENS0_9LoopTypesINSR_IJvvvEEES1S_EEEEEEvT0_.num_agpr, 0
	.set _ZN4RAJA8internal22HipKernelLauncherFixedILi256ENS0_8LoopDataIN4camp5tupleIJNS_4SpanINS_9Iterators16numeric_iteratorIllPlEElEESA_SA_EEENS4_IJdEEENS3_9resources2v13HipEJZN8rajaperf9polybench13POLYBENCH_2MM17runHipVariantImplILm256EEEvNSG_9VariantIDEEUlRdE0_ZNSJ_ILm256EEEvSK_EUllllSL_E0_ZNSJ_ILm256EEEvSK_EUlllSL_E0_EEENS0_24HipStatementListExecutorISP_NS3_4listIJNS_9statement3ForILl0ENS_6policy3hip11hip_indexerINS_17iteration_mapping6DirectELNS_23kernel_sync_requirementE0EJNS_3hip11IndexGlobalILNS_9named_dimE1ELi8ELi0EEEEEEJNST_ILl1ENSW_ISY_LSZ_0EJNS11_ILS12_0ELi32ELi0EEEEEEJNSS_6LambdaILl0EJNSR_IJNS0_9LambdaArgINS0_18lambda_arg_param_tELl0EEEEEEEEENST_ILl2ENSU_10sequential8seq_execEJNS17_ILl1EJNSR_IJNS18_INS0_16lambda_arg_seg_tELl0EEENS18_IS1F_Ll1EEENS18_IS1F_Ll2EEEEEES1B_EEEEEENS17_ILl2EJNSR_IJS1G_S1H_EEES1B_EEEEEEEEEEEENS0_9LoopTypesINSR_IJvvvEEES1S_EEEEEEvT0_.numbered_sgpr, 22
	.set _ZN4RAJA8internal22HipKernelLauncherFixedILi256ENS0_8LoopDataIN4camp5tupleIJNS_4SpanINS_9Iterators16numeric_iteratorIllPlEElEESA_SA_EEENS4_IJdEEENS3_9resources2v13HipEJZN8rajaperf9polybench13POLYBENCH_2MM17runHipVariantImplILm256EEEvNSG_9VariantIDEEUlRdE0_ZNSJ_ILm256EEEvSK_EUllllSL_E0_ZNSJ_ILm256EEEvSK_EUlllSL_E0_EEENS0_24HipStatementListExecutorISP_NS3_4listIJNS_9statement3ForILl0ENS_6policy3hip11hip_indexerINS_17iteration_mapping6DirectELNS_23kernel_sync_requirementE0EJNS_3hip11IndexGlobalILNS_9named_dimE1ELi8ELi0EEEEEEJNST_ILl1ENSW_ISY_LSZ_0EJNS11_ILS12_0ELi32ELi0EEEEEEJNSS_6LambdaILl0EJNSR_IJNS0_9LambdaArgINS0_18lambda_arg_param_tELl0EEEEEEEEENST_ILl2ENSU_10sequential8seq_execEJNS17_ILl1EJNSR_IJNS18_INS0_16lambda_arg_seg_tELl0EEENS18_IS1F_Ll1EEENS18_IS1F_Ll2EEEEEES1B_EEEEEENS17_ILl2EJNSR_IJS1G_S1H_EEES1B_EEEEEEEEEEEENS0_9LoopTypesINSR_IJvvvEEES1S_EEEEEEvT0_.num_named_barrier, 0
	.set _ZN4RAJA8internal22HipKernelLauncherFixedILi256ENS0_8LoopDataIN4camp5tupleIJNS_4SpanINS_9Iterators16numeric_iteratorIllPlEElEESA_SA_EEENS4_IJdEEENS3_9resources2v13HipEJZN8rajaperf9polybench13POLYBENCH_2MM17runHipVariantImplILm256EEEvNSG_9VariantIDEEUlRdE0_ZNSJ_ILm256EEEvSK_EUllllSL_E0_ZNSJ_ILm256EEEvSK_EUlllSL_E0_EEENS0_24HipStatementListExecutorISP_NS3_4listIJNS_9statement3ForILl0ENS_6policy3hip11hip_indexerINS_17iteration_mapping6DirectELNS_23kernel_sync_requirementE0EJNS_3hip11IndexGlobalILNS_9named_dimE1ELi8ELi0EEEEEEJNST_ILl1ENSW_ISY_LSZ_0EJNS11_ILS12_0ELi32ELi0EEEEEEJNSS_6LambdaILl0EJNSR_IJNS0_9LambdaArgINS0_18lambda_arg_param_tELl0EEEEEEEEENST_ILl2ENSU_10sequential8seq_execEJNS17_ILl1EJNSR_IJNS18_INS0_16lambda_arg_seg_tELl0EEENS18_IS1F_Ll1EEENS18_IS1F_Ll2EEEEEES1B_EEEEEENS17_ILl2EJNSR_IJS1G_S1H_EEES1B_EEEEEEEEEEEENS0_9LoopTypesINSR_IJvvvEEES1S_EEEEEEvT0_.private_seg_size, 0
	.set _ZN4RAJA8internal22HipKernelLauncherFixedILi256ENS0_8LoopDataIN4camp5tupleIJNS_4SpanINS_9Iterators16numeric_iteratorIllPlEElEESA_SA_EEENS4_IJdEEENS3_9resources2v13HipEJZN8rajaperf9polybench13POLYBENCH_2MM17runHipVariantImplILm256EEEvNSG_9VariantIDEEUlRdE0_ZNSJ_ILm256EEEvSK_EUllllSL_E0_ZNSJ_ILm256EEEvSK_EUlllSL_E0_EEENS0_24HipStatementListExecutorISP_NS3_4listIJNS_9statement3ForILl0ENS_6policy3hip11hip_indexerINS_17iteration_mapping6DirectELNS_23kernel_sync_requirementE0EJNS_3hip11IndexGlobalILNS_9named_dimE1ELi8ELi0EEEEEEJNST_ILl1ENSW_ISY_LSZ_0EJNS11_ILS12_0ELi32ELi0EEEEEEJNSS_6LambdaILl0EJNSR_IJNS0_9LambdaArgINS0_18lambda_arg_param_tELl0EEEEEEEEENST_ILl2ENSU_10sequential8seq_execEJNS17_ILl1EJNSR_IJNS18_INS0_16lambda_arg_seg_tELl0EEENS18_IS1F_Ll1EEENS18_IS1F_Ll2EEEEEES1B_EEEEEENS17_ILl2EJNSR_IJS1G_S1H_EEES1B_EEEEEEEEEEEENS0_9LoopTypesINSR_IJvvvEEES1S_EEEEEEvT0_.uses_vcc, 1
	.set _ZN4RAJA8internal22HipKernelLauncherFixedILi256ENS0_8LoopDataIN4camp5tupleIJNS_4SpanINS_9Iterators16numeric_iteratorIllPlEElEESA_SA_EEENS4_IJdEEENS3_9resources2v13HipEJZN8rajaperf9polybench13POLYBENCH_2MM17runHipVariantImplILm256EEEvNSG_9VariantIDEEUlRdE0_ZNSJ_ILm256EEEvSK_EUllllSL_E0_ZNSJ_ILm256EEEvSK_EUlllSL_E0_EEENS0_24HipStatementListExecutorISP_NS3_4listIJNS_9statement3ForILl0ENS_6policy3hip11hip_indexerINS_17iteration_mapping6DirectELNS_23kernel_sync_requirementE0EJNS_3hip11IndexGlobalILNS_9named_dimE1ELi8ELi0EEEEEEJNST_ILl1ENSW_ISY_LSZ_0EJNS11_ILS12_0ELi32ELi0EEEEEEJNSS_6LambdaILl0EJNSR_IJNS0_9LambdaArgINS0_18lambda_arg_param_tELl0EEEEEEEEENST_ILl2ENSU_10sequential8seq_execEJNS17_ILl1EJNSR_IJNS18_INS0_16lambda_arg_seg_tELl0EEENS18_IS1F_Ll1EEENS18_IS1F_Ll2EEEEEES1B_EEEEEENS17_ILl2EJNSR_IJS1G_S1H_EEES1B_EEEEEEEEEEEENS0_9LoopTypesINSR_IJvvvEEES1S_EEEEEEvT0_.uses_flat_scratch, 0
	.set _ZN4RAJA8internal22HipKernelLauncherFixedILi256ENS0_8LoopDataIN4camp5tupleIJNS_4SpanINS_9Iterators16numeric_iteratorIllPlEElEESA_SA_EEENS4_IJdEEENS3_9resources2v13HipEJZN8rajaperf9polybench13POLYBENCH_2MM17runHipVariantImplILm256EEEvNSG_9VariantIDEEUlRdE0_ZNSJ_ILm256EEEvSK_EUllllSL_E0_ZNSJ_ILm256EEEvSK_EUlllSL_E0_EEENS0_24HipStatementListExecutorISP_NS3_4listIJNS_9statement3ForILl0ENS_6policy3hip11hip_indexerINS_17iteration_mapping6DirectELNS_23kernel_sync_requirementE0EJNS_3hip11IndexGlobalILNS_9named_dimE1ELi8ELi0EEEEEEJNST_ILl1ENSW_ISY_LSZ_0EJNS11_ILS12_0ELi32ELi0EEEEEEJNSS_6LambdaILl0EJNSR_IJNS0_9LambdaArgINS0_18lambda_arg_param_tELl0EEEEEEEEENST_ILl2ENSU_10sequential8seq_execEJNS17_ILl1EJNSR_IJNS18_INS0_16lambda_arg_seg_tELl0EEENS18_IS1F_Ll1EEENS18_IS1F_Ll2EEEEEES1B_EEEEEENS17_ILl2EJNSR_IJS1G_S1H_EEES1B_EEEEEEEEEEEENS0_9LoopTypesINSR_IJvvvEEES1S_EEEEEEvT0_.has_dyn_sized_stack, 0
	.set _ZN4RAJA8internal22HipKernelLauncherFixedILi256ENS0_8LoopDataIN4camp5tupleIJNS_4SpanINS_9Iterators16numeric_iteratorIllPlEElEESA_SA_EEENS4_IJdEEENS3_9resources2v13HipEJZN8rajaperf9polybench13POLYBENCH_2MM17runHipVariantImplILm256EEEvNSG_9VariantIDEEUlRdE0_ZNSJ_ILm256EEEvSK_EUllllSL_E0_ZNSJ_ILm256EEEvSK_EUlllSL_E0_EEENS0_24HipStatementListExecutorISP_NS3_4listIJNS_9statement3ForILl0ENS_6policy3hip11hip_indexerINS_17iteration_mapping6DirectELNS_23kernel_sync_requirementE0EJNS_3hip11IndexGlobalILNS_9named_dimE1ELi8ELi0EEEEEEJNST_ILl1ENSW_ISY_LSZ_0EJNS11_ILS12_0ELi32ELi0EEEEEEJNSS_6LambdaILl0EJNSR_IJNS0_9LambdaArgINS0_18lambda_arg_param_tELl0EEEEEEEEENST_ILl2ENSU_10sequential8seq_execEJNS17_ILl1EJNSR_IJNS18_INS0_16lambda_arg_seg_tELl0EEENS18_IS1F_Ll1EEENS18_IS1F_Ll2EEEEEES1B_EEEEEENS17_ILl2EJNSR_IJS1G_S1H_EEES1B_EEEEEEEEEEEENS0_9LoopTypesINSR_IJvvvEEES1S_EEEEEEvT0_.has_recursion, 0
	.set _ZN4RAJA8internal22HipKernelLauncherFixedILi256ENS0_8LoopDataIN4camp5tupleIJNS_4SpanINS_9Iterators16numeric_iteratorIllPlEElEESA_SA_EEENS4_IJdEEENS3_9resources2v13HipEJZN8rajaperf9polybench13POLYBENCH_2MM17runHipVariantImplILm256EEEvNSG_9VariantIDEEUlRdE0_ZNSJ_ILm256EEEvSK_EUllllSL_E0_ZNSJ_ILm256EEEvSK_EUlllSL_E0_EEENS0_24HipStatementListExecutorISP_NS3_4listIJNS_9statement3ForILl0ENS_6policy3hip11hip_indexerINS_17iteration_mapping6DirectELNS_23kernel_sync_requirementE0EJNS_3hip11IndexGlobalILNS_9named_dimE1ELi8ELi0EEEEEEJNST_ILl1ENSW_ISY_LSZ_0EJNS11_ILS12_0ELi32ELi0EEEEEEJNSS_6LambdaILl0EJNSR_IJNS0_9LambdaArgINS0_18lambda_arg_param_tELl0EEEEEEEEENST_ILl2ENSU_10sequential8seq_execEJNS17_ILl1EJNSR_IJNS18_INS0_16lambda_arg_seg_tELl0EEENS18_IS1F_Ll1EEENS18_IS1F_Ll2EEEEEES1B_EEEEEENS17_ILl2EJNSR_IJS1G_S1H_EEES1B_EEEEEEEEEEEENS0_9LoopTypesINSR_IJvvvEEES1S_EEEEEEvT0_.has_indirect_call, 0
	.section	.AMDGPU.csdata,"",@progbits
; Kernel info:
; codeLenInByte = 516
; TotalNumSgprs: 24
; NumVgprs: 14
; ScratchSize: 0
; MemoryBound: 1
; FloatMode: 240
; IeeeMode: 1
; LDSByteSize: 0 bytes/workgroup (compile time only)
; SGPRBlocks: 0
; VGPRBlocks: 0
; NumSGPRsForWavesPerEU: 24
; NumVGPRsForWavesPerEU: 14
; NamedBarCnt: 0
; Occupancy: 16
; WaveLimiterHint : 1
; COMPUTE_PGM_RSRC2:SCRATCH_EN: 0
; COMPUTE_PGM_RSRC2:USER_SGPR: 2
; COMPUTE_PGM_RSRC2:TRAP_HANDLER: 0
; COMPUTE_PGM_RSRC2:TGID_X_EN: 1
; COMPUTE_PGM_RSRC2:TGID_Y_EN: 1
; COMPUTE_PGM_RSRC2:TGID_Z_EN: 0
; COMPUTE_PGM_RSRC2:TIDIG_COMP_CNT: 1
	.section	.AMDGPU.gpr_maximums,"",@progbits
	.set amdgpu.max_num_vgpr, 0
	.set amdgpu.max_num_agpr, 0
	.set amdgpu.max_num_sgpr, 0
	.section	.AMDGPU.csdata,"",@progbits
	.type	__hip_cuid_b646fb5850ef9f94,@object ; @__hip_cuid_b646fb5850ef9f94
	.section	.bss,"aw",@nobits
	.globl	__hip_cuid_b646fb5850ef9f94
__hip_cuid_b646fb5850ef9f94:
	.byte	0                               ; 0x0
	.size	__hip_cuid_b646fb5850ef9f94, 1

	.ident	"AMD clang version 22.0.0git (https://github.com/RadeonOpenCompute/llvm-project roc-7.2.4 26084 f58b06dce1f9c15707c5f808fd002e18c2accf7e)"
	.section	".note.GNU-stack","",@progbits
	.addrsig
	.addrsig_sym __hip_cuid_b646fb5850ef9f94
	.amdgpu_metadata
---
amdhsa.kernels:
  - .args:
      - .address_space:  global
        .offset:         0
        .size:           8
        .value_kind:     global_buffer
      - .address_space:  global
        .offset:         8
        .size:           8
        .value_kind:     global_buffer
      - .address_space:  global
        .offset:         16
        .size:           8
        .value_kind:     global_buffer
      - .offset:         24
        .size:           8
        .value_kind:     by_value
      - .offset:         32
        .size:           8
        .value_kind:     by_value
      - .offset:         40
        .size:           8
        .value_kind:     by_value
      - .offset:         48
        .size:           8
        .value_kind:     by_value
    .group_segment_fixed_size: 0
    .kernarg_segment_align: 8
    .kernarg_segment_size: 56
    .language:       OpenCL C
    .language_version:
      - 2
      - 0
    .max_flat_workgroup_size: 256
    .name:           _ZN8rajaperf9polybench10poly_2mm_1ILm32ELm8EEEvPdS2_S2_dlll
    .private_segment_fixed_size: 0
    .sgpr_count:     22
    .sgpr_spill_count: 0
    .symbol:         _ZN8rajaperf9polybench10poly_2mm_1ILm32ELm8EEEvPdS2_S2_dlll.kd
    .uniform_work_group_size: 1
    .uses_dynamic_stack: false
    .vgpr_count:     14
    .vgpr_spill_count: 0
    .wavefront_size: 32
  - .args:
      - .address_space:  global
        .offset:         0
        .size:           8
        .value_kind:     global_buffer
      - .address_space:  global
        .offset:         8
        .size:           8
        .value_kind:     global_buffer
      - .address_space:  global
        .offset:         16
        .size:           8
        .value_kind:     global_buffer
      - .offset:         24
        .size:           8
        .value_kind:     by_value
      - .offset:         32
        .size:           8
        .value_kind:     by_value
      - .offset:         40
        .size:           8
        .value_kind:     by_value
      - .offset:         48
        .size:           8
        .value_kind:     by_value
    .group_segment_fixed_size: 0
    .kernarg_segment_align: 8
    .kernarg_segment_size: 56
    .language:       OpenCL C
    .language_version:
      - 2
      - 0
    .max_flat_workgroup_size: 256
    .name:           _ZN8rajaperf9polybench10poly_2mm_2ILm32ELm8EEEvPdS2_S2_dlll
    .private_segment_fixed_size: 0
    .sgpr_count:     22
    .sgpr_spill_count: 0
    .symbol:         _ZN8rajaperf9polybench10poly_2mm_2ILm32ELm8EEEvPdS2_S2_dlll.kd
    .uniform_work_group_size: 1
    .uses_dynamic_stack: false
    .vgpr_count:     14
    .vgpr_spill_count: 0
    .wavefront_size: 32
  - .args:
      - .offset:         0
        .size:           8
        .value_kind:     by_value
      - .offset:         8
        .size:           8
        .value_kind:     by_value
      - .offset:         16
        .size:           48
        .value_kind:     by_value
    .group_segment_fixed_size: 0
    .kernarg_segment_align: 8
    .kernarg_segment_size: 64
    .language:       OpenCL C
    .language_version:
      - 2
      - 0
    .max_flat_workgroup_size: 256
    .name:           _ZN8rajaperf9polybench14poly_2mm_1_lamILm32ELm8EZNS0_13POLYBENCH_2MM17runHipVariantImplILm256EEEvNS_9VariantIDEEUlllE_EEvllT1_
    .private_segment_fixed_size: 0
    .sgpr_count:     23
    .sgpr_spill_count: 0
    .symbol:         _ZN8rajaperf9polybench14poly_2mm_1_lamILm32ELm8EZNS0_13POLYBENCH_2MM17runHipVariantImplILm256EEEvNS_9VariantIDEEUlllE_EEvllT1_.kd
    .uniform_work_group_size: 1
    .uses_dynamic_stack: false
    .vgpr_count:     14
    .vgpr_spill_count: 0
    .wavefront_size: 32
  - .args:
      - .offset:         0
        .size:           8
        .value_kind:     by_value
      - .offset:         8
        .size:           8
        .value_kind:     by_value
      - .offset:         16
        .size:           48
        .value_kind:     by_value
    .group_segment_fixed_size: 0
    .kernarg_segment_align: 8
    .kernarg_segment_size: 64
    .language:       OpenCL C
    .language_version:
      - 2
      - 0
    .max_flat_workgroup_size: 256
    .name:           _ZN8rajaperf9polybench14poly_2mm_2_lamILm32ELm8EZNS0_13POLYBENCH_2MM17runHipVariantImplILm256EEEvNS_9VariantIDEEUlllE0_EEvllT1_
    .private_segment_fixed_size: 0
    .sgpr_count:     23
    .sgpr_spill_count: 0
    .symbol:         _ZN8rajaperf9polybench14poly_2mm_2_lamILm32ELm8EZNS0_13POLYBENCH_2MM17runHipVariantImplILm256EEEvNS_9VariantIDEEUlllE0_EEvllT1_.kd
    .uniform_work_group_size: 1
    .uses_dynamic_stack: false
    .vgpr_count:     14
    .vgpr_spill_count: 0
    .wavefront_size: 32
  - .args:
      - .offset:         0
        .size:           336
        .value_kind:     by_value
    .group_segment_fixed_size: 0
    .kernarg_segment_align: 8
    .kernarg_segment_size: 336
    .language:       OpenCL C
    .language_version:
      - 2
      - 0
    .max_flat_workgroup_size: 256
    .name:           _ZN4RAJA8internal22HipKernelLauncherFixedILi256ENS0_8LoopDataIN4camp5tupleIJNS_4SpanINS_9Iterators16numeric_iteratorIllPlEElEESA_SA_EEENS4_IJdEEENS3_9resources2v13HipEJZN8rajaperf9polybench13POLYBENCH_2MM17runHipVariantImplILm256EEEvNSG_9VariantIDEEUlRdE_ZNSJ_ILm256EEEvSK_EUllllSL_E_ZNSJ_ILm256EEEvSK_EUlllSL_E_EEENS0_24HipStatementListExecutorISP_NS3_4listIJNS_9statement3ForILl0ENS_6policy3hip11hip_indexerINS_17iteration_mapping6DirectELNS_23kernel_sync_requirementE0EJNS_3hip11IndexGlobalILNS_9named_dimE1ELi8ELi0EEEEEEJNST_ILl1ENSW_ISY_LSZ_0EJNS11_ILS12_0ELi32ELi0EEEEEEJNSS_6LambdaILl0EJNSR_IJNS0_9LambdaArgINS0_18lambda_arg_param_tELl0EEEEEEEEENST_ILl2ENSU_10sequential8seq_execEJNS17_ILl1EJNSR_IJNS18_INS0_16lambda_arg_seg_tELl0EEENS18_IS1F_Ll1EEENS18_IS1F_Ll2EEEEEES1B_EEEEEENS17_ILl2EJNSR_IJS1G_S1H_EEES1B_EEEEEEEEEEEENS0_9LoopTypesINSR_IJvvvEEES1S_EEEEEEvT0_
    .private_segment_fixed_size: 0
    .sgpr_count:     24
    .sgpr_spill_count: 0
    .symbol:         _ZN4RAJA8internal22HipKernelLauncherFixedILi256ENS0_8LoopDataIN4camp5tupleIJNS_4SpanINS_9Iterators16numeric_iteratorIllPlEElEESA_SA_EEENS4_IJdEEENS3_9resources2v13HipEJZN8rajaperf9polybench13POLYBENCH_2MM17runHipVariantImplILm256EEEvNSG_9VariantIDEEUlRdE_ZNSJ_ILm256EEEvSK_EUllllSL_E_ZNSJ_ILm256EEEvSK_EUlllSL_E_EEENS0_24HipStatementListExecutorISP_NS3_4listIJNS_9statement3ForILl0ENS_6policy3hip11hip_indexerINS_17iteration_mapping6DirectELNS_23kernel_sync_requirementE0EJNS_3hip11IndexGlobalILNS_9named_dimE1ELi8ELi0EEEEEEJNST_ILl1ENSW_ISY_LSZ_0EJNS11_ILS12_0ELi32ELi0EEEEEEJNSS_6LambdaILl0EJNSR_IJNS0_9LambdaArgINS0_18lambda_arg_param_tELl0EEEEEEEEENST_ILl2ENSU_10sequential8seq_execEJNS17_ILl1EJNSR_IJNS18_INS0_16lambda_arg_seg_tELl0EEENS18_IS1F_Ll1EEENS18_IS1F_Ll2EEEEEES1B_EEEEEENS17_ILl2EJNSR_IJS1G_S1H_EEES1B_EEEEEEEEEEEENS0_9LoopTypesINSR_IJvvvEEES1S_EEEEEEvT0_.kd
    .uniform_work_group_size: 1
    .uses_dynamic_stack: false
    .vgpr_count:     14
    .vgpr_spill_count: 0
    .wavefront_size: 32
  - .args:
      - .offset:         0
        .size:           336
        .value_kind:     by_value
    .group_segment_fixed_size: 0
    .kernarg_segment_align: 8
    .kernarg_segment_size: 336
    .language:       OpenCL C
    .language_version:
      - 2
      - 0
    .max_flat_workgroup_size: 256
    .name:           _ZN4RAJA8internal22HipKernelLauncherFixedILi256ENS0_8LoopDataIN4camp5tupleIJNS_4SpanINS_9Iterators16numeric_iteratorIllPlEElEESA_SA_EEENS4_IJdEEENS3_9resources2v13HipEJZN8rajaperf9polybench13POLYBENCH_2MM17runHipVariantImplILm256EEEvNSG_9VariantIDEEUlRdE0_ZNSJ_ILm256EEEvSK_EUllllSL_E0_ZNSJ_ILm256EEEvSK_EUlllSL_E0_EEENS0_24HipStatementListExecutorISP_NS3_4listIJNS_9statement3ForILl0ENS_6policy3hip11hip_indexerINS_17iteration_mapping6DirectELNS_23kernel_sync_requirementE0EJNS_3hip11IndexGlobalILNS_9named_dimE1ELi8ELi0EEEEEEJNST_ILl1ENSW_ISY_LSZ_0EJNS11_ILS12_0ELi32ELi0EEEEEEJNSS_6LambdaILl0EJNSR_IJNS0_9LambdaArgINS0_18lambda_arg_param_tELl0EEEEEEEEENST_ILl2ENSU_10sequential8seq_execEJNS17_ILl1EJNSR_IJNS18_INS0_16lambda_arg_seg_tELl0EEENS18_IS1F_Ll1EEENS18_IS1F_Ll2EEEEEES1B_EEEEEENS17_ILl2EJNSR_IJS1G_S1H_EEES1B_EEEEEEEEEEEENS0_9LoopTypesINSR_IJvvvEEES1S_EEEEEEvT0_
    .private_segment_fixed_size: 0
    .sgpr_count:     24
    .sgpr_spill_count: 0
    .symbol:         _ZN4RAJA8internal22HipKernelLauncherFixedILi256ENS0_8LoopDataIN4camp5tupleIJNS_4SpanINS_9Iterators16numeric_iteratorIllPlEElEESA_SA_EEENS4_IJdEEENS3_9resources2v13HipEJZN8rajaperf9polybench13POLYBENCH_2MM17runHipVariantImplILm256EEEvNSG_9VariantIDEEUlRdE0_ZNSJ_ILm256EEEvSK_EUllllSL_E0_ZNSJ_ILm256EEEvSK_EUlllSL_E0_EEENS0_24HipStatementListExecutorISP_NS3_4listIJNS_9statement3ForILl0ENS_6policy3hip11hip_indexerINS_17iteration_mapping6DirectELNS_23kernel_sync_requirementE0EJNS_3hip11IndexGlobalILNS_9named_dimE1ELi8ELi0EEEEEEJNST_ILl1ENSW_ISY_LSZ_0EJNS11_ILS12_0ELi32ELi0EEEEEEJNSS_6LambdaILl0EJNSR_IJNS0_9LambdaArgINS0_18lambda_arg_param_tELl0EEEEEEEEENST_ILl2ENSU_10sequential8seq_execEJNS17_ILl1EJNSR_IJNS18_INS0_16lambda_arg_seg_tELl0EEENS18_IS1F_Ll1EEENS18_IS1F_Ll2EEEEEES1B_EEEEEENS17_ILl2EJNSR_IJS1G_S1H_EEES1B_EEEEEEEEEEEENS0_9LoopTypesINSR_IJvvvEEES1S_EEEEEEvT0_.kd
    .uniform_work_group_size: 1
    .uses_dynamic_stack: false
    .vgpr_count:     14
    .vgpr_spill_count: 0
    .wavefront_size: 32
amdhsa.target:   amdgcn-amd-amdhsa--gfx1250
amdhsa.version:
  - 1
  - 2
...

	.end_amdgpu_metadata
